;; amdgpu-corpus repo=ROCm/rocFFT kind=compiled arch=gfx906 opt=O3
	.text
	.amdgcn_target "amdgcn-amd-amdhsa--gfx906"
	.amdhsa_code_object_version 6
	.protected	bluestein_single_fwd_len1638_dim1_half_op_CI_CI ; -- Begin function bluestein_single_fwd_len1638_dim1_half_op_CI_CI
	.globl	bluestein_single_fwd_len1638_dim1_half_op_CI_CI
	.p2align	8
	.type	bluestein_single_fwd_len1638_dim1_half_op_CI_CI,@function
bluestein_single_fwd_len1638_dim1_half_op_CI_CI: ; @bluestein_single_fwd_len1638_dim1_half_op_CI_CI
; %bb.0:
	s_load_dwordx4 s[0:3], s[4:5], 0x28
	v_mul_u32_u24_e32 v1, 0x169, v0
	v_add_u32_sdwa v8, s6, v1 dst_sel:DWORD dst_unused:UNUSED_PAD src0_sel:DWORD src1_sel:WORD_1
	v_mov_b32_e32 v9, 0
	s_waitcnt lgkmcnt(0)
	v_cmp_gt_u64_e32 vcc, s[0:1], v[8:9]
	s_and_saveexec_b64 s[0:1], vcc
	s_cbranch_execz .LBB0_31
; %bb.1:
	s_load_dwordx2 s[12:13], s[4:5], 0x0
	s_load_dwordx2 s[14:15], s[4:5], 0x38
	s_movk_i32 s0, 0xb6
	v_mul_lo_u16_sdwa v1, v1, s0 dst_sel:DWORD dst_unused:UNUSED_PAD src0_sel:WORD_1 src1_sel:DWORD
	v_sub_u16_e32 v42, v0, v1
	s_movk_i32 s0, 0x7e
	v_cmp_gt_u16_e64 s[0:1], s0, v42
	v_lshlrev_b32_e32 v41, 2, v42
	s_and_saveexec_b64 s[6:7], s[0:1]
	s_cbranch_execz .LBB0_3
; %bb.2:
	s_load_dwordx2 s[8:9], s[4:5], 0x18
	s_waitcnt lgkmcnt(0)
	s_load_dwordx4 s[8:11], s[8:9], 0x0
	s_waitcnt lgkmcnt(0)
	v_mad_u64_u32 v[0:1], s[16:17], s10, v8, 0
	v_mad_u64_u32 v[2:3], s[16:17], s8, v42, 0
	;; [unrolled: 1-line block ×4, first 2 shown]
	v_mov_b32_e32 v1, v4
	v_lshlrev_b64 v[0:1], 2, v[0:1]
	v_mov_b32_e32 v3, v5
	v_mov_b32_e32 v6, s3
	v_lshlrev_b64 v[2:3], 2, v[2:3]
	v_add_co_u32_e32 v0, vcc, s2, v0
	v_addc_co_u32_e32 v1, vcc, v6, v1, vcc
	v_add_co_u32_e32 v0, vcc, v0, v2
	v_addc_co_u32_e32 v1, vcc, v1, v3, vcc
	global_load_dword v4, v[0:1], off
	global_load_dword v5, v41, s[12:13]
	v_mov_b32_e32 v2, s13
	v_add_co_u32_e32 v3, vcc, s12, v41
	s_mul_i32 s3, s9, 0x1f8
	s_mul_hi_u32 s9, s8, 0x1f8
	v_addc_co_u32_e32 v15, vcc, 0, v2, vcc
	s_mulk_i32 s8, 0x1f8
	s_add_i32 s3, s9, s3
	v_mov_b32_e32 v2, s3
	v_add_co_u32_e32 v0, vcc, s8, v0
	v_addc_co_u32_e32 v1, vcc, v1, v2, vcc
	global_load_dword v6, v41, s[12:13] offset:504
	global_load_dword v7, v41, s[12:13] offset:1008
	;; [unrolled: 1-line block ×7, first 2 shown]
	global_load_dword v16, v[0:1], off
	v_add_co_u32_e32 v0, vcc, s8, v0
	v_addc_co_u32_e32 v1, vcc, v1, v2, vcc
	global_load_dword v19, v[0:1], off
	v_mov_b32_e32 v17, s3
	v_add_co_u32_e32 v0, vcc, s8, v0
	v_addc_co_u32_e32 v1, vcc, v1, v17, vcc
	global_load_dword v17, v[0:1], off
	v_mov_b32_e32 v18, s3
	v_add_co_u32_e32 v0, vcc, s8, v0
	v_addc_co_u32_e32 v1, vcc, v1, v18, vcc
	global_load_dword v18, v[0:1], off
	v_add_co_u32_e32 v0, vcc, s8, v0
	v_addc_co_u32_e32 v1, vcc, v1, v2, vcc
	global_load_dword v24, v[0:1], off
	v_mov_b32_e32 v20, s3
	v_add_co_u32_e32 v0, vcc, s8, v0
	v_addc_co_u32_e32 v1, vcc, v1, v20, vcc
	global_load_dword v20, v[0:1], off
	v_mov_b32_e32 v21, s3
	;; [unrolled: 4-line block ×3, first 2 shown]
	v_add_co_u32_e32 v0, vcc, s8, v0
	v_addc_co_u32_e32 v1, vcc, v1, v22, vcc
	v_mov_b32_e32 v23, s3
	global_load_dword v22, v[0:1], off
	v_add_co_u32_e32 v0, vcc, s8, v0
	s_movk_i32 s2, 0x1000
	global_load_dword v14, v41, s[12:13] offset:4032
	v_addc_co_u32_e32 v1, vcc, v1, v23, vcc
	global_load_dword v23, v[0:1], off
	v_mov_b32_e32 v27, s3
	v_mov_b32_e32 v28, s3
	s_waitcnt vmcnt(18)
	v_lshrrev_b32_e32 v2, 16, v4
	s_waitcnt vmcnt(17)
	v_mul_f16_sdwa v25, v5, v4 dst_sel:DWORD dst_unused:UNUSED_PAD src0_sel:WORD_1 src1_sel:DWORD
	v_fma_f16 v25, v5, v2, -v25
	v_mul_f16_sdwa v26, v5, v2 dst_sel:DWORD dst_unused:UNUSED_PAD src0_sel:WORD_1 src1_sel:DWORD
	v_add_co_u32_e32 v2, vcc, s2, v3
	v_addc_co_u32_e32 v3, vcc, 0, v15, vcc
	global_load_dword v15, v[2:3], off offset:440
	global_load_dword v29, v[2:3], off offset:944
	v_add_co_u32_e32 v0, vcc, s8, v0
	v_addc_co_u32_e32 v1, vcc, v1, v27, vcc
	global_load_dword v27, v[0:1], off
	v_add_co_u32_e32 v0, vcc, s8, v0
	v_addc_co_u32_e32 v1, vcc, v1, v28, vcc
	global_load_dword v28, v[0:1], off
	global_load_dword v30, v[2:3], off offset:1448
	v_fma_f16 v4, v5, v4, v26
	v_mov_b32_e32 v5, s3
	v_add_co_u32_e32 v0, vcc, s8, v0
	v_addc_co_u32_e32 v1, vcc, v1, v5, vcc
	global_load_dword v5, v[0:1], off
	global_load_dword v26, v[2:3], off offset:1952
	s_waitcnt vmcnt(16)
	v_lshrrev_b32_e32 v0, 16, v16
	v_mul_f16_sdwa v1, v6, v16 dst_sel:DWORD dst_unused:UNUSED_PAD src0_sel:WORD_1 src1_sel:DWORD
	v_fma_f16 v1, v6, v0, -v1
	v_mul_f16_sdwa v0, v6, v0 dst_sel:DWORD dst_unused:UNUSED_PAD src0_sel:WORD_1 src1_sel:DWORD
	v_fma_f16 v0, v6, v16, v0
	v_pack_b32_f16 v2, v4, v25
	v_pack_b32_f16 v0, v0, v1
	ds_write2_b32 v41, v2, v0 offset1:126
	s_waitcnt vmcnt(15)
	v_lshrrev_b32_e32 v0, 16, v19
	v_mul_f16_sdwa v1, v7, v0 dst_sel:DWORD dst_unused:UNUSED_PAD src0_sel:WORD_1 src1_sel:DWORD
	v_mul_f16_sdwa v2, v7, v19 dst_sel:DWORD dst_unused:UNUSED_PAD src0_sel:WORD_1 src1_sel:DWORD
	v_fma_f16 v1, v7, v19, v1
	v_fma_f16 v0, v7, v0, -v2
	v_pack_b32_f16 v0, v1, v0
	s_waitcnt vmcnt(14)
	v_lshrrev_b32_e32 v1, 16, v17
	v_mul_f16_sdwa v2, v9, v1 dst_sel:DWORD dst_unused:UNUSED_PAD src0_sel:WORD_1 src1_sel:DWORD
	v_mul_f16_sdwa v3, v9, v17 dst_sel:DWORD dst_unused:UNUSED_PAD src0_sel:WORD_1 src1_sel:DWORD
	v_fma_f16 v2, v9, v17, v2
	v_fma_f16 v1, v9, v1, -v3
	v_pack_b32_f16 v1, v2, v1
	v_add_u32_e32 v2, 0x200, v41
	ds_write2_b32 v2, v0, v1 offset0:124 offset1:250
	s_waitcnt vmcnt(13)
	v_lshrrev_b32_e32 v0, 16, v18
	v_mul_f16_sdwa v1, v10, v0 dst_sel:DWORD dst_unused:UNUSED_PAD src0_sel:WORD_1 src1_sel:DWORD
	v_mul_f16_sdwa v2, v10, v18 dst_sel:DWORD dst_unused:UNUSED_PAD src0_sel:WORD_1 src1_sel:DWORD
	v_fma_f16 v1, v10, v18, v1
	v_fma_f16 v0, v10, v0, -v2
	v_pack_b32_f16 v0, v1, v0
	s_waitcnt vmcnt(12)
	v_lshrrev_b32_e32 v1, 16, v24
	v_mul_f16_sdwa v2, v11, v1 dst_sel:DWORD dst_unused:UNUSED_PAD src0_sel:WORD_1 src1_sel:DWORD
	v_mul_f16_sdwa v3, v11, v24 dst_sel:DWORD dst_unused:UNUSED_PAD src0_sel:WORD_1 src1_sel:DWORD
	v_fma_f16 v2, v11, v24, v2
	v_fma_f16 v1, v11, v1, -v3
	v_pack_b32_f16 v1, v2, v1
	v_add_u32_e32 v2, 0x600, v41
	ds_write2_b32 v2, v0, v1 offset0:120 offset1:246
	;; [unrolled: 16-line block ×3, first 2 shown]
	s_waitcnt vmcnt(9)
	v_lshrrev_b32_e32 v0, 16, v22
	s_waitcnt vmcnt(8)
	v_mul_f16_sdwa v1, v14, v0 dst_sel:DWORD dst_unused:UNUSED_PAD src0_sel:WORD_1 src1_sel:DWORD
	v_mul_f16_sdwa v2, v14, v22 dst_sel:DWORD dst_unused:UNUSED_PAD src0_sel:WORD_1 src1_sel:DWORD
	v_fma_f16 v1, v14, v22, v1
	v_fma_f16 v0, v14, v0, -v2
	v_pack_b32_f16 v0, v1, v0
	s_waitcnt vmcnt(7)
	v_lshrrev_b32_e32 v1, 16, v23
	s_waitcnt vmcnt(6)
	v_mul_f16_sdwa v2, v15, v1 dst_sel:DWORD dst_unused:UNUSED_PAD src0_sel:WORD_1 src1_sel:DWORD
	v_mul_f16_sdwa v3, v15, v23 dst_sel:DWORD dst_unused:UNUSED_PAD src0_sel:WORD_1 src1_sel:DWORD
	v_fma_f16 v2, v15, v23, v2
	v_fma_f16 v1, v15, v1, -v3
	v_pack_b32_f16 v1, v2, v1
	v_add_u32_e32 v2, 0xe00, v41
	ds_write2_b32 v2, v0, v1 offset0:112 offset1:238
	s_waitcnt vmcnt(4)
	v_lshrrev_b32_e32 v0, 16, v27
	v_mul_f16_sdwa v1, v29, v0 dst_sel:DWORD dst_unused:UNUSED_PAD src0_sel:WORD_1 src1_sel:DWORD
	v_mul_f16_sdwa v2, v29, v27 dst_sel:DWORD dst_unused:UNUSED_PAD src0_sel:WORD_1 src1_sel:DWORD
	v_fma_f16 v1, v29, v27, v1
	v_fma_f16 v0, v29, v0, -v2
	v_pack_b32_f16 v0, v1, v0
	s_waitcnt vmcnt(3)
	v_lshrrev_b32_e32 v1, 16, v28
	s_waitcnt vmcnt(2)
	v_mul_f16_sdwa v2, v30, v1 dst_sel:DWORD dst_unused:UNUSED_PAD src0_sel:WORD_1 src1_sel:DWORD
	v_mul_f16_sdwa v3, v30, v28 dst_sel:DWORD dst_unused:UNUSED_PAD src0_sel:WORD_1 src1_sel:DWORD
	v_fma_f16 v2, v30, v28, v2
	v_fma_f16 v1, v30, v1, -v3
	v_pack_b32_f16 v1, v2, v1
	v_add_u32_e32 v2, 0x1200, v41
	ds_write2_b32 v2, v0, v1 offset0:108 offset1:234
	s_waitcnt vmcnt(1)
	v_lshrrev_b32_e32 v0, 16, v5
	s_waitcnt vmcnt(0)
	v_mul_f16_sdwa v1, v26, v0 dst_sel:DWORD dst_unused:UNUSED_PAD src0_sel:WORD_1 src1_sel:DWORD
	v_mul_f16_sdwa v2, v26, v5 dst_sel:DWORD dst_unused:UNUSED_PAD src0_sel:WORD_1 src1_sel:DWORD
	v_fma_f16 v1, v26, v5, v1
	v_fma_f16 v0, v26, v0, -v2
	v_pack_b32_f16 v0, v1, v0
	ds_write_b32 v41, v0 offset:6048
.LBB0_3:
	s_or_b64 exec, exec, s[6:7]
	v_mov_b32_e32 v0, 0
	s_waitcnt lgkmcnt(0)
	s_barrier
	s_waitcnt lgkmcnt(0)
                                        ; implicit-def: $vgpr13
                                        ; implicit-def: $vgpr12
                                        ; implicit-def: $vgpr10
                                        ; implicit-def: $vgpr7
                                        ; implicit-def: $vgpr5
                                        ; implicit-def: $vgpr3
	s_and_saveexec_b64 s[2:3], s[0:1]
	s_cbranch_execz .LBB0_5
; %bb.4:
	v_add_u32_e32 v2, 0x200, v41
	v_add_u32_e32 v4, 0x600, v41
	;; [unrolled: 1-line block ×5, first 2 shown]
	ds_read2_b32 v[0:1], v41 offset1:126
	ds_read2_b32 v[2:3], v2 offset0:124 offset1:250
	ds_read2_b32 v[4:5], v4 offset0:120 offset1:246
	ds_read2_b32 v[6:7], v6 offset0:116 offset1:242
	ds_read2_b32 v[9:10], v9 offset0:112 offset1:238
	ds_read2_b32 v[11:12], v11 offset0:108 offset1:234
	ds_read_b32 v13, v41 offset:6048
.LBB0_5:
	s_or_b64 exec, exec, s[2:3]
	s_waitcnt lgkmcnt(0)
	v_pk_add_f16 v15, v1, v13 neg_lo:[0,1] neg_hi:[0,1]
	s_mov_b32 s2, 0xb770
	v_pk_add_f16 v14, v13, v1
	s_movk_i32 s6, 0x3b15
	v_mul_f16_sdwa v21, v15, s2 dst_sel:DWORD dst_unused:UNUSED_PAD src0_sel:WORD_1 src1_sel:DWORD
	s_mov_b32 s2, 0xba95
	v_pk_add_f16 v23, v2, v12 neg_lo:[0,1] neg_hi:[0,1]
	v_fma_f16 v16, v14, s6, v21
	v_lshrrev_b32_e32 v57, 16, v14
	s_movk_i32 s10, 0x388b
	v_mul_f16_e32 v24, 0xba95, v15
	v_pk_add_f16 v18, v12, v2
	v_mul_f16_sdwa v27, v23, s2 dst_sel:DWORD dst_unused:UNUSED_PAD src0_sel:WORD_1 src1_sel:DWORD
	v_add_f16_e32 v16, v16, v0
	v_fma_f16 v17, v57, s10, -v24
	s_mov_b32 s3, 0xbbf1
	s_mov_b32 s11, 0xb5ac
	v_fma_f16 v19, v18, s10, v27
	v_lshrrev_b32_e32 v66, 16, v18
	v_mul_f16_e32 v31, 0xbb7b, v23
	v_add_f16_sdwa v17, v17, v0 dst_sel:DWORD dst_unused:UNUSED_PAD src0_sel:DWORD src1_sel:WORD_1
	s_movk_i32 s7, 0x2fb7
	v_mul_f16_sdwa v29, v15, s3 dst_sel:DWORD dst_unused:UNUSED_PAD src0_sel:WORD_1 src1_sel:DWORD
	v_add_f16_e32 v16, v19, v16
	v_fma_f16 v19, v66, s11, -v31
	s_mov_b32 s20, 0xb3a8
	v_add_f16_e32 v17, v19, v17
	v_fma_f16 v19, v14, s7, v29
	s_mov_b32 s18, 0xbbc4
	v_mul_f16_sdwa v33, v23, s20 dst_sel:DWORD dst_unused:UNUSED_PAD src0_sel:WORD_1 src1_sel:DWORD
	v_add_f16_e32 v19, v19, v0
	v_fma_f16 v20, v18, s18, v33
	v_mul_f16_e32 v40, 0xbbf1, v15
	v_add_f16_e32 v19, v20, v19
	v_fma_f16 v20, v57, s7, -v40
	v_mul_f16_e32 v43, 0xb3a8, v23
	s_mov_b32 s21, 0xbb7b
	v_add_f16_sdwa v20, v20, v0 dst_sel:DWORD dst_unused:UNUSED_PAD src0_sel:DWORD src1_sel:WORD_1
	v_fma_f16 v22, v66, s18, -v43
	v_mul_f16_sdwa v45, v15, s21 dst_sel:DWORD dst_unused:UNUSED_PAD src0_sel:WORD_1 src1_sel:DWORD
	s_movk_i32 s8, 0x394e
	v_add_f16_e32 v20, v22, v20
	v_fma_f16 v22, v14, s11, v45
	s_mov_b32 s19, 0xb9fd
	v_mul_f16_sdwa v47, v23, s8 dst_sel:DWORD dst_unused:UNUSED_PAD src0_sel:WORD_1 src1_sel:DWORD
	v_add_f16_e32 v22, v22, v0
	v_fma_f16 v25, v18, s19, v47
	v_mul_f16_e32 v51, 0xbb7b, v15
	v_add_f16_e32 v22, v25, v22
	v_fma_f16 v25, v57, s11, -v51
	v_mul_f16_e32 v52, 0x394e, v23
	s_mov_b32 s22, 0xb94e
	v_add_f16_sdwa v25, v25, v0 dst_sel:DWORD dst_unused:UNUSED_PAD src0_sel:DWORD src1_sel:WORD_1
	v_fma_f16 v26, v66, s19, -v52
	v_mul_f16_sdwa v61, v15, s22 dst_sel:DWORD dst_unused:UNUSED_PAD src0_sel:WORD_1 src1_sel:DWORD
	s_movk_i32 s23, 0x3bf1
	v_add_f16_e32 v25, v26, v25
	v_fma_f16 v26, v14, s19, v61
	v_mul_f16_sdwa v62, v23, s23 dst_sel:DWORD dst_unused:UNUSED_PAD src0_sel:WORD_1 src1_sel:DWORD
	v_add_f16_e32 v26, v26, v0
	v_fma_f16 v28, v18, s7, v62
	v_mul_f16_e32 v71, 0xb94e, v15
	v_add_f16_e32 v26, v28, v26
	v_fma_f16 v28, v57, s19, -v71
	v_mul_f16_e32 v70, 0x3bf1, v23
	v_add_f16_sdwa v28, v28, v0 dst_sel:DWORD dst_unused:UNUSED_PAD src0_sel:DWORD src1_sel:WORD_1
	v_fma_f16 v30, v66, s7, -v70
	v_add_f16_e32 v32, v30, v28
	v_pk_add_f16 v30, v3, v11 neg_lo:[0,1] neg_hi:[0,1]
	v_pk_add_f16 v28, v11, v3
	v_mul_f16_sdwa v38, v30, s3 dst_sel:DWORD dst_unused:UNUSED_PAD src0_sel:WORD_1 src1_sel:DWORD
	v_fma_f16 v34, v28, s7, v38
	v_lshrrev_b32_e32 v75, 16, v28
	v_mul_f16_e32 v46, 0xb3a8, v30
	s_movk_i32 s8, 0x3b7b
	v_add_f16_e32 v16, v34, v16
	v_fma_f16 v34, v75, s18, -v46
	v_mul_f16_sdwa v50, v30, s8 dst_sel:DWORD dst_unused:UNUSED_PAD src0_sel:WORD_1 src1_sel:DWORD
	v_add_f16_e32 v17, v34, v17
	v_fma_f16 v34, v28, s11, v50
	v_mul_f16_e32 v54, 0x3b7b, v30
	s_movk_i32 s24, 0x3770
	v_add_f16_e32 v19, v34, v19
	v_fma_f16 v34, v75, s11, -v54
	v_mul_f16_sdwa v58, v30, s24 dst_sel:DWORD dst_unused:UNUSED_PAD src0_sel:WORD_1 src1_sel:DWORD
	v_add_f16_e32 v20, v34, v20
	v_fma_f16 v34, v28, s6, v58
	v_mul_f16_e32 v63, 0x3770, v30
	v_add_f16_e32 v22, v34, v22
	v_fma_f16 v34, v75, s6, -v63
	v_mul_f16_sdwa v72, v30, s2 dst_sel:DWORD dst_unused:UNUSED_PAD src0_sel:WORD_1 src1_sel:DWORD
	v_add_f16_e32 v25, v34, v25
	v_fma_f16 v34, v28, s10, v72
	v_mul_f16_e32 v79, 0xba95, v30
	v_add_f16_e32 v26, v34, v26
	v_fma_f16 v34, v75, s10, -v79
	v_add_f16_e32 v35, v34, v32
	v_pk_add_f16 v34, v4, v10 neg_lo:[0,1] neg_hi:[0,1]
	v_pk_add_f16 v32, v10, v4
	v_mul_f16_sdwa v49, v34, s21 dst_sel:DWORD dst_unused:UNUSED_PAD src0_sel:WORD_1 src1_sel:DWORD
	v_fma_f16 v36, v32, s11, v49
	v_lshrrev_b32_e32 v81, 16, v32
	v_mul_f16_e32 v55, 0x394e, v34
	v_add_f16_e32 v16, v36, v16
	v_fma_f16 v36, v81, s19, -v55
	v_mul_f16_sdwa v59, v34, s24 dst_sel:DWORD dst_unused:UNUSED_PAD src0_sel:WORD_1 src1_sel:DWORD
	v_add_f16_e32 v17, v36, v17
	v_fma_f16 v36, v32, s6, v59
	v_mul_f16_e32 v64, 0x3770, v34
	v_add_f16_e32 v19, v36, v19
	v_fma_f16 v36, v81, s6, -v64
	v_mul_f16_sdwa v67, v34, s3 dst_sel:DWORD dst_unused:UNUSED_PAD src0_sel:WORD_1 src1_sel:DWORD
	v_add_f16_e32 v20, v36, v20
	v_fma_f16 v36, v32, s7, v67
	v_mul_f16_e32 v73, 0xbbf1, v34
	s_movk_i32 s3, 0x33a8
	v_add_f16_e32 v22, v36, v22
	v_fma_f16 v36, v81, s7, -v73
	v_mul_f16_sdwa v80, v34, s3 dst_sel:DWORD dst_unused:UNUSED_PAD src0_sel:WORD_1 src1_sel:DWORD
	v_add_f16_e32 v25, v36, v25
	v_fma_f16 v36, v32, s18, v80
	v_mul_f16_e32 v89, 0x33a8, v34
	v_pk_add_f16 v48, v5, v9 neg_lo:[0,1] neg_hi:[0,1]
	v_add_f16_e32 v26, v36, v26
	v_fma_f16 v36, v81, s18, -v89
	v_pk_add_f16 v44, v9, v5
	v_mul_f16_sdwa v56, v48, s22 dst_sel:DWORD dst_unused:UNUSED_PAD src0_sel:WORD_1 src1_sel:DWORD
	v_add_f16_e32 v35, v36, v35
	v_fma_f16 v36, v44, s19, v56
	v_lshrrev_b32_e32 v88, 16, v44
	v_mul_f16_e32 v65, 0x3bf1, v48
	v_add_f16_e32 v16, v36, v16
	v_fma_f16 v36, v88, s7, -v65
	v_mul_f16_sdwa v68, v48, s2 dst_sel:DWORD dst_unused:UNUSED_PAD src0_sel:WORD_1 src1_sel:DWORD
	v_add_f16_e32 v17, v36, v17
	v_fma_f16 v36, v44, s10, v68
	v_mul_f16_e32 v74, 0xba95, v48
	v_add_f16_e32 v39, v36, v19
	v_fma_f16 v19, v88, s10, -v74
	v_mul_f16_sdwa v78, v48, s3 dst_sel:DWORD dst_unused:UNUSED_PAD src0_sel:WORD_1 src1_sel:DWORD
	v_add_f16_e32 v36, v19, v20
	v_fma_f16 v19, v44, s18, v78
	;; [unrolled: 6-line block ×3, first 2 shown]
	v_mul_f16_e32 v98, 0x3770, v48
	s_mov_b32 s2, 0x3b15388b
	v_pk_add_f16 v60, v6, v7 neg_lo:[0,1] neg_hi:[0,1]
	v_add_f16_e32 v91, v19, v26
	v_fma_f16 v19, v88, s6, -v98
	s_mov_b32 s3, 0xba95b770
	s_mov_b32 s8, 0x388bb5ac
	v_pk_add_f16 v53, v7, v6
	v_mul_f16_sdwa v69, v60, s20 dst_sel:DWORD dst_unused:UNUSED_PAD src0_sel:WORD_1 src1_sel:DWORD
	v_pk_mul_f16 v93, v14, s2
	v_add_f16_e32 v92, v19, v35
	s_mov_b32 s26, 0xbb7bba95
	s_mov_b32 s9, 0x2fb7bbc4
	v_fma_f16 v19, v53, s18, v69
	v_pk_fma_f16 v76, v15, s3, v93 op_sel:[0,0,1] op_sel_hi:[1,1,0]
	v_pk_mul_f16 v94, v18, s8
	s_mov_b32 s27, 0xb3a8bbf1
	s_mov_b32 s16, 0xb5acb9fd
	v_add_f16_e32 v20, v19, v16
	v_pk_fma_f16 v77, v23, s26, v94 op_sel:[0,0,1] op_sel_hi:[1,1,0]
	v_add_f16_sdwa v16, v76, v0 dst_sel:DWORD dst_unused:UNUSED_PAD src0_sel:WORD_1 src1_sel:DWORD
	v_pk_mul_f16 v95, v28, s9
	s_mov_b32 s28, 0x394ebb7b
	s_mov_b32 s17, 0xb9fd2fb7
	v_add_f16_sdwa v16, v77, v16 dst_sel:DWORD dst_unused:UNUSED_PAD src0_sel:WORD_1 src1_sel:DWORD
	v_pk_fma_f16 v82, v30, s27, v95 op_sel:[0,0,1] op_sel_hi:[1,1,0]
	v_pk_mul_f16 v96, v32, s16
	s_mov_b32 s29, 0x3bf1b94e
	s_mov_b32 s25, 0xbbc43b15
	v_add_f16_sdwa v16, v82, v16 dst_sel:DWORD dst_unused:UNUSED_PAD src0_sel:WORD_1 src1_sel:DWORD
	v_pk_fma_f16 v83, v34, s28, v96 op_sel:[0,0,1] op_sel_hi:[1,1,0]
	v_pk_mul_f16 v100, v44, s17
	s_mov_b32 s30, 0x3770b3a8
	v_add_f16_sdwa v16, v83, v16 dst_sel:DWORD dst_unused:UNUSED_PAD src0_sel:WORD_1 src1_sel:DWORD
	v_pk_fma_f16 v84, v48, s29, v100 op_sel:[0,0,1] op_sel_hi:[1,1,0]
	v_pk_mul_f16 v105, v53, s25
	v_add_f16_sdwa v16, v84, v16 dst_sel:DWORD dst_unused:UNUSED_PAD src0_sel:WORD_1 src1_sel:DWORD
	v_pk_fma_f16 v85, v60, s30, v105 op_sel:[0,0,1] op_sel_hi:[1,1,0]
	v_lshrrev_b32_e32 v101, 16, v53
	v_mul_f16_e32 v87, 0x3770, v60
	v_add_f16_sdwa v19, v85, v16 dst_sel:DWORD dst_unused:UNUSED_PAD src0_sel:WORD_1 src1_sel:DWORD
	v_fma_f16 v16, v101, s6, -v87
	v_mul_f16_e32 v97, 0xb94e, v60
	s_movk_i32 s25, 0x3a95
	v_add_f16_e32 v35, v16, v17
	v_fma_f16 v16, v101, s19, -v97
	v_mul_f16_sdwa v99, v60, s25 dst_sel:DWORD dst_unused:UNUSED_PAD src0_sel:WORD_1 src1_sel:DWORD
	v_add_f16_e32 v36, v16, v36
	v_fma_f16 v16, v53, s10, v99
	v_mul_f16_e32 v102, 0x3a95, v60
	v_add_f16_e32 v25, v16, v22
	v_fma_f16 v16, v101, s10, -v102
	v_mul_f16_sdwa v103, v60, s21 dst_sel:DWORD dst_unused:UNUSED_PAD src0_sel:WORD_1 src1_sel:DWORD
	v_add_f16_e32 v26, v16, v37
	v_fma_f16 v16, v53, s11, v103
	v_mul_f16_e32 v104, 0xbb7b, v60
	v_add_f16_e32 v16, v16, v91
	v_fma_f16 v17, v101, s11, -v104
	v_pk_fma_f16 v91, v15, s3, v93 op_sel:[0,0,1] op_sel_hi:[1,1,0] neg_lo:[1,0,0] neg_hi:[1,0,0]
	v_add_f16_e32 v17, v17, v92
	v_pk_fma_f16 v92, v23, s26, v94 op_sel:[0,0,1] op_sel_hi:[1,1,0] neg_lo:[1,0,0] neg_hi:[1,0,0]
	v_add_f16_sdwa v22, v91, v0 dst_sel:DWORD dst_unused:UNUSED_PAD src0_sel:DWORD src1_sel:WORD_1
	v_pk_fma_f16 v93, v30, s27, v95 op_sel:[0,0,1] op_sel_hi:[1,1,0] neg_lo:[1,0,0] neg_hi:[1,0,0]
	v_add_f16_e32 v22, v92, v22
	s_load_dwordx2 s[8:9], s[4:5], 0x20
	s_load_dwordx2 s[16:17], s[4:5], 0x8
	v_pk_fma_f16 v94, v34, s28, v96 op_sel:[0,0,1] op_sel_hi:[1,1,0] neg_lo:[1,0,0] neg_hi:[1,0,0]
	v_add_f16_e32 v22, v93, v22
	v_pk_fma_f16 v95, v48, s29, v100 op_sel:[0,0,1] op_sel_hi:[1,1,0] neg_lo:[1,0,0] neg_hi:[1,0,0]
	v_add_f16_e32 v22, v94, v22
	;; [unrolled: 2-line block ×3, first 2 shown]
	v_mul_f16_sdwa v100, v60, s22 dst_sel:DWORD dst_unused:UNUSED_PAD src0_sel:WORD_1 src1_sel:DWORD
	v_add_f16_e32 v37, v96, v22
	v_fma_f16 v22, v53, s19, v100
	v_add_f16_e32 v22, v22, v39
	v_mul_lo_u16_e32 v39, 13, v42
	s_waitcnt lgkmcnt(0)
	s_barrier
	s_and_saveexec_b64 s[2:3], s[0:1]
	s_cbranch_execz .LBB0_7
; %bb.6:
	v_mul_f16_e32 v107, 0x388b, v57
	v_mul_f16_e32 v109, 0x2fb7, v57
	;; [unrolled: 1-line block ×4, first 2 shown]
	v_alignbit_b32 v105, v0, v0, 16
	v_mul_f16_e32 v114, 0xb5ac, v66
	v_mul_f16_e32 v116, 0xbbc4, v66
	;; [unrolled: 1-line block ×4, first 2 shown]
	v_add_f16_e32 v57, v71, v57
	v_mul_f16_e32 v121, 0xbbc4, v75
	v_mul_f16_e32 v123, 0xb5ac, v75
	v_mul_f16_e32 v125, 0x3b15, v75
	v_mul_f16_e32 v75, 0x388b, v75
	v_add_f16_e32 v66, v70, v66
	v_add_f16_sdwa v57, v57, v0 dst_sel:DWORD dst_unused:UNUSED_PAD src0_sel:DWORD src1_sel:WORD_1
	v_pk_add_f16 v1, v1, v105 op_sel:[0,1] op_sel_hi:[1,0]
	v_add_f16_e32 v57, v66, v57
	v_add_f16_e32 v75, v79, v75
	v_pk_add_f16 v1, v2, v1
	v_add_f16_e32 v57, v75, v57
	v_mul_f16_e32 v75, 0xbbc4, v81
	v_pk_add_f16 v1, v3, v1
	v_add_f16_e32 v75, v89, v75
	v_pk_add_f16 v1, v4, v1
	v_mul_f16_e32 v106, 0x3b15, v14
	v_mul_f16_e32 v108, 0x2fb7, v14
	;; [unrolled: 1-line block ×4, first 2 shown]
	v_add_f16_e32 v57, v75, v57
	v_mul_f16_e32 v75, 0x3b15, v88
	v_pk_add_f16 v1, v5, v1
	v_mul_f16_e32 v113, 0x388b, v18
	v_mul_f16_e32 v119, 0x2fb7, v18
	v_add_f16_e32 v75, v98, v75
	v_sub_f16_e32 v61, v112, v61
	v_add_f16_e32 v51, v51, v111
	v_sub_f16_e32 v45, v110, v45
	;; [unrolled: 2-line block ×4, first 2 shown]
	v_pk_add_f16 v1, v6, v1
	v_mul_f16_e32 v115, 0xbbc4, v18
	v_mul_f16_e32 v120, 0x2fb7, v28
	;; [unrolled: 1-line block ×3, first 2 shown]
	v_add_f16_e32 v57, v75, v57
	v_mul_f16_e32 v75, 0xb5ac, v101
	v_sub_f16_e32 v62, v119, v62
	v_add_f16_e32 v61, v61, v0
	v_add_f16_sdwa v51, v51, v0 dst_sel:DWORD dst_unused:UNUSED_PAD src0_sel:DWORD src1_sel:WORD_1
	v_add_f16_e32 v45, v45, v0
	v_add_f16_sdwa v40, v40, v0 dst_sel:DWORD dst_unused:UNUSED_PAD src0_sel:DWORD src1_sel:WORD_1
	v_add_f16_e32 v29, v29, v0
	v_add_f16_sdwa v24, v24, v0 dst_sel:DWORD dst_unused:UNUSED_PAD src0_sel:DWORD src1_sel:WORD_1
	v_add_f16_e32 v31, v31, v114
	v_add_f16_e32 v0, v21, v0
	v_sub_f16_e32 v21, v113, v27
	v_pk_add_f16 v1, v7, v1
	v_mul_f16_e32 v122, 0xb5ac, v28
	v_mul_f16_e32 v70, 0xb5ac, v32
	;; [unrolled: 1-line block ×3, first 2 shown]
	v_add_f16_e32 v75, v104, v75
	v_mul_f16_e32 v104, 0xbbc4, v32
	v_add_f16_e32 v61, v62, v61
	v_sub_f16_e32 v71, v71, v72
	v_sub_f16_e32 v33, v115, v33
	v_add_f16_e32 v24, v31, v24
	v_add_f16_e32 v31, v46, v121
	;; [unrolled: 1-line block ×3, first 2 shown]
	v_sub_f16_e32 v21, v120, v38
	v_pk_add_f16 v1, v9, v1
	v_mul_f16_e32 v79, 0x3b15, v32
	v_add_f16_e32 v57, v75, v57
	v_mul_f16_e32 v75, 0xb9fd, v44
	v_mul_f16_e32 v112, 0x2fb7, v88
	v_add_f16_e32 v61, v71, v61
	v_mul_f16_e32 v71, 0x3b15, v44
	v_sub_f16_e32 v80, v104, v80
	v_add_f16_e32 v43, v43, v116
	v_add_f16_e32 v29, v33, v29
	v_sub_f16_e32 v33, v122, v50
	v_add_f16_e32 v24, v31, v24
	v_add_f16_e32 v31, v55, v66
	;; [unrolled: 1-line block ×3, first 2 shown]
	v_sub_f16_e32 v21, v70, v49
	v_pk_add_f16 v1, v10, v1
	v_mul_f16_e32 v117, 0xb9fd, v18
	v_mul_f16_e32 v89, 0x3b15, v81
	;; [unrolled: 1-line block ×4, first 2 shown]
	v_add_f16_e32 v61, v80, v61
	v_mul_f16_e32 v80, 0x3b15, v101
	v_sub_f16_e32 v71, v71, v90
	v_add_f16_e32 v40, v43, v40
	v_add_f16_e32 v43, v54, v123
	;; [unrolled: 1-line block ×3, first 2 shown]
	v_sub_f16_e32 v33, v79, v59
	v_add_f16_e32 v24, v31, v24
	v_add_f16_e32 v31, v65, v112
	;; [unrolled: 1-line block ×3, first 2 shown]
	v_sub_f16_e32 v21, v75, v56
	v_pk_add_f16 v1, v11, v1
	v_mul_f16_e32 v124, 0x3b15, v28
	v_mul_f16_e32 v62, 0x388b, v88
	;; [unrolled: 1-line block ×3, first 2 shown]
	v_add_f16_e32 v61, v71, v61
	v_mul_f16_e32 v71, 0xb5ac, v53
	v_sub_f16_e32 v47, v117, v47
	v_add_f16_e32 v40, v43, v40
	v_add_f16_e32 v43, v64, v89
	;; [unrolled: 1-line block ×3, first 2 shown]
	v_sub_f16_e32 v33, v119, v68
	v_add_f16_e32 v24, v31, v24
	v_add_f16_e32 v31, v87, v80
	s_mov_b32 s4, 0xffff
	v_add_f16_e32 v0, v21, v0
	v_sub_f16_e32 v21, v104, v69
	v_pk_add_f16 v1, v12, v1
	v_mul_f16_e32 v98, 0x2fb7, v32
	v_sub_f16_e32 v71, v71, v103
	v_mul_f16_e32 v103, 0xb9fd, v101
	v_add_f16_e32 v45, v47, v45
	v_sub_f16_e32 v47, v124, v58
	v_add_f16_e32 v40, v43, v40
	v_add_f16_e32 v43, v74, v62
	;; [unrolled: 1-line block ×3, first 2 shown]
	v_sub_f16_e32 v33, v90, v100
	v_add_f16_e32 v24, v31, v24
	v_bfi_b32 v31, s4, v76, v91
	v_add_f16_e32 v0, v21, v0
	v_lshlrev_b32_e32 v21, 2, v39
	v_pk_add_f16 v1, v13, v1
	v_mul_f16_e32 v72, 0xbbc4, v44
	v_add_f16_e32 v45, v47, v45
	v_sub_f16_e32 v47, v98, v67
	v_add_f16_e32 v40, v43, v40
	v_add_f16_e32 v43, v97, v103
	;; [unrolled: 1-line block ×3, first 2 shown]
	v_bfi_b32 v33, s4, v77, v92
	ds_write_b32 v21, v1
	v_pk_add_f16 v1, v31, v105
	v_add_f16_e32 v61, v71, v61
	v_mul_f16_e32 v71, 0x388b, v53
	v_add_f16_e32 v52, v52, v118
	v_add_f16_e32 v45, v47, v45
	v_sub_f16_e32 v47, v72, v78
	v_add_f16_e32 v40, v43, v40
	v_bfi_b32 v43, s4, v82, v93
	v_pk_add_f16 v1, v33, v1
	v_mul_f16_e32 v81, 0x2fb7, v81
	v_add_f16_e32 v51, v52, v51
	v_add_f16_e32 v52, v63, v125
	;; [unrolled: 1-line block ×3, first 2 shown]
	v_sub_f16_e32 v47, v71, v99
	v_bfi_b32 v46, s4, v83, v94
	v_pk_add_f16 v1, v43, v1
	v_mul_f16_e32 v88, 0xbbc4, v88
	v_add_f16_e32 v51, v52, v51
	v_add_f16_e32 v52, v73, v81
	;; [unrolled: 1-line block ×3, first 2 shown]
	v_bfi_b32 v47, s4, v84, v95
	v_pk_add_f16 v1, v46, v1
	v_mul_f16_e32 v101, 0x388b, v101
	v_add_f16_e32 v51, v52, v51
	v_add_f16_e32 v52, v86, v88
	v_bfi_b32 v50, s4, v85, v96
	v_pk_add_f16 v1, v47, v1
	v_add_f16_e32 v51, v52, v51
	v_add_f16_e32 v52, v102, v101
	v_pk_add_f16 v1, v50, v1
	v_add_f16_e32 v51, v52, v51
	v_alignbit_b32 v2, v24, v1, 16
	v_pack_b32_f16 v0, v0, v1
	ds_write2_b32 v21, v0, v2 offset0:1 offset1:2
	v_pack_b32_f16 v0, v45, v51
	v_pack_b32_f16 v1, v29, v40
	ds_write2_b32 v21, v1, v0 offset0:3 offset1:4
	v_pk_mul_f16 v0, v15, s20 op_sel_hi:[1,0]
	v_pk_mul_f16 v1, v23, s24 op_sel_hi:[1,0]
	v_pk_fma_f16 v6, v14, s18, v0 op_sel:[0,0,1] op_sel_hi:[1,0,0] neg_lo:[0,0,1] neg_hi:[0,0,1]
	v_pk_fma_f16 v0, v14, s18, v0 op_sel:[0,0,1] op_sel_hi:[1,0,0]
	v_bfi_b32 v7, s4, v6, v0
	v_pk_fma_f16 v9, v18, s6, v1 op_sel:[0,0,1] op_sel_hi:[1,0,0] neg_lo:[0,0,1] neg_hi:[0,0,1]
	v_pk_fma_f16 v1, v18, s6, v1 op_sel:[0,0,1] op_sel_hi:[1,0,0]
	v_pk_mul_f16 v2, v30, s22 op_sel_hi:[1,0]
	v_pk_add_f16 v7, v7, v105 op_sel:[0,1] op_sel_hi:[1,0]
	v_bfi_b32 v10, s4, v9, v1
	v_pk_add_f16 v7, v10, v7
	v_pk_fma_f16 v10, v28, s19, v2 op_sel:[0,0,1] op_sel_hi:[1,0,0] neg_lo:[0,0,1] neg_hi:[0,0,1]
	v_pk_fma_f16 v2, v28, s19, v2 op_sel:[0,0,1] op_sel_hi:[1,0,0]
	v_pk_mul_f16 v3, v34, s25 op_sel_hi:[1,0]
	v_bfi_b32 v11, s4, v10, v2
	v_pk_add_f16 v7, v11, v7
	v_pk_fma_f16 v11, v32, s10, v3 op_sel:[0,0,1] op_sel_hi:[1,0,0] neg_lo:[0,0,1] neg_hi:[0,0,1]
	v_pk_fma_f16 v3, v32, s10, v3 op_sel:[0,0,1] op_sel_hi:[1,0,0]
	v_bfi_b32 v0, s4, v0, v6
	v_pk_mul_f16 v4, v48, s21 op_sel_hi:[1,0]
	v_bfi_b32 v12, s4, v11, v3
	v_pk_add_f16 v0, v0, v105 op_sel:[0,1] op_sel_hi:[1,0]
	v_bfi_b32 v1, s4, v1, v9
	v_pk_add_f16 v7, v12, v7
	v_pk_fma_f16 v12, v44, s11, v4 op_sel:[0,0,1] op_sel_hi:[1,0,0] neg_lo:[0,0,1] neg_hi:[0,0,1]
	v_pk_fma_f16 v4, v44, s11, v4 op_sel:[0,0,1] op_sel_hi:[1,0,0]
	v_pk_add_f16 v0, v1, v0
	v_bfi_b32 v1, s4, v2, v10
	v_pk_mul_f16 v5, v60, s23 op_sel_hi:[1,0]
	v_bfi_b32 v13, s4, v12, v4
	v_pk_add_f16 v0, v1, v0
	v_bfi_b32 v1, s4, v3, v11
	v_pk_add_f16 v7, v13, v7
	v_pk_fma_f16 v13, v53, s7, v5 op_sel:[0,0,1] op_sel_hi:[1,0,0] neg_lo:[0,0,1] neg_hi:[0,0,1]
	v_pk_fma_f16 v5, v53, s7, v5 op_sel:[0,0,1] op_sel_hi:[1,0,0]
	v_pk_add_f16 v0, v1, v0
	v_bfi_b32 v1, s4, v4, v12
	v_bfi_b32 v14, s4, v13, v5
	v_pk_add_f16 v0, v1, v0
	v_bfi_b32 v1, s4, v5, v13
	s_mov_b32 s4, 0x5040100
	v_pk_add_f16 v0, v1, v0
	v_perm_b32 v1, v17, v16, s4
	ds_write2_b32 v21, v0, v1 offset0:7 offset1:8
	v_perm_b32 v0, v36, v22, s4
	v_perm_b32 v1, v26, v25, s4
	v_pk_add_f16 v7, v14, v7
	v_pack_b32_f16 v14, v61, v57
	ds_write2_b32 v21, v1, v0 offset0:9 offset1:10
	v_perm_b32 v0, v37, v20, s4
	v_perm_b32 v1, v35, v19, s4
	ds_write2_b32 v21, v14, v7 offset0:5 offset1:6
	ds_write2_b32 v21, v1, v0 offset0:11 offset1:12
.LBB0_7:
	s_or_b64 exec, exec, s[2:3]
	v_add_u32_e32 v0, 0xc00, v41
	s_waitcnt lgkmcnt(0)
	s_barrier
	ds_read2_b32 v[6:7], v0 offset0:51 offset1:233
	v_add_u32_e32 v0, 0x500, v41
	v_add_u32_e32 v4, 0x1200, v41
	ds_read2_b32 v[2:3], v41 offset1:182
	ds_read2_b32 v[0:1], v0 offset0:44 offset1:226
	ds_read2_b32 v[4:5], v4 offset0:31 offset1:213
	s_movk_i32 s2, 0x5b
	v_cmp_gt_u16_e64 s[2:3], s2, v42
	s_and_saveexec_b64 s[4:5], s[2:3]
	s_cbranch_execz .LBB0_9
; %bb.8:
	ds_read_b32 v16, v41 offset:2912
	ds_read_b32 v25, v41 offset:6188
	s_waitcnt lgkmcnt(1)
	v_lshrrev_b32_e32 v17, 16, v16
	s_waitcnt lgkmcnt(0)
	v_lshrrev_b32_e32 v26, 16, v25
.LBB0_9:
	s_or_b64 exec, exec, s[4:5]
	s_movk_i32 s18, 0x4f
	v_mul_lo_u16_sdwa v9, v42, s18 dst_sel:DWORD dst_unused:UNUSED_PAD src0_sel:BYTE_0 src1_sel:DWORD
	v_add_co_u32_e32 v29, vcc, 0xb6, v42
	v_lshrrev_b16_e32 v12, 10, v9
	s_movk_i32 s10, 0x4ec5
	v_mul_lo_u16_e32 v9, 13, v12
	v_mul_u32_u24_sdwa v10, v29, s10 dst_sel:DWORD dst_unused:UNUSED_PAD src0_sel:WORD_0 src1_sel:DWORD
	v_sub_u16_e32 v9, v42, v9
	v_lshrrev_b32_e32 v15, 18, v10
	s_mov_b64 s[4:5], vcc
	v_add_co_u32_e32 v23, vcc, 0x16c, v42
	v_and_b32_e32 v13, 0xff, v9
	v_mul_lo_u16_e32 v9, 13, v15
	v_sub_u16_e32 v18, v29, v9
	v_mul_u32_u24_sdwa v9, v23, s10 dst_sel:DWORD dst_unused:UNUSED_PAD src0_sel:WORD_0 src1_sel:DWORD
	v_lshrrev_b32_e32 v27, 18, v9
	v_mul_lo_u16_e32 v24, 13, v27
	v_sub_u16_e32 v28, v23, v24
	s_mov_b64 s[6:7], vcc
	v_add_co_u32_e32 v11, vcc, 0x222, v42
	v_lshlrev_b32_e32 v14, 2, v13
	v_lshlrev_b32_e32 v21, 2, v18
	;; [unrolled: 1-line block ×3, first 2 shown]
	v_mul_u32_u24_sdwa v30, v11, s10 dst_sel:DWORD dst_unused:UNUSED_PAD src0_sel:WORD_0 src1_sel:DWORD
	global_load_dword v47, v14, s[16:17]
	global_load_dword v46, v21, s[16:17]
	;; [unrolled: 1-line block ×3, first 2 shown]
	v_add_u16_e32 v24, 0x2d8, v42
	v_lshrrev_b32_e32 v14, 18, v30
	v_mul_u32_u24_e32 v30, 0x4ec5, v24
	v_mul_lo_u16_e32 v21, 13, v14
	v_lshrrev_b32_e32 v43, 18, v30
	v_sub_u16_e32 v11, v11, v21
	v_mul_lo_u16_e32 v30, 13, v43
	v_lshlrev_b32_e32 v21, 2, v11
	v_sub_u16_e32 v44, v24, v30
	global_load_dword v49, v21, s[16:17]
	v_lshlrev_b32_e32 v21, 2, v44
	global_load_dword v48, v21, s[16:17]
	s_waitcnt lgkmcnt(3)
	v_lshrrev_b32_e32 v31, 16, v6
	s_waitcnt lgkmcnt(2)
	v_lshrrev_b32_e32 v21, 16, v2
	v_lshrrev_b32_e32 v33, 16, v7
	s_waitcnt lgkmcnt(0)
	v_lshrrev_b32_e32 v50, 16, v5
	v_lshrrev_b32_e32 v32, 16, v3
	;; [unrolled: 1-line block ×4, first 2 shown]
	v_mul_u32_u24_e32 v12, 26, v12
	s_load_dwordx4 s[8:11], s[8:9], 0x0
	v_lshrrev_b32_e32 v34, 16, v0
	s_waitcnt vmcnt(0) lgkmcnt(0)
	s_barrier
	v_addc_co_u32_e64 v30, s[4:5], 0, 0, s[4:5]
	v_addc_co_u32_e64 v24, s[4:5], 0, 0, s[6:7]
	v_mul_f16_sdwa v51, v31, v47 dst_sel:DWORD dst_unused:UNUSED_PAD src0_sel:DWORD src1_sel:WORD_1
	v_mul_f16_sdwa v52, v6, v47 dst_sel:DWORD dst_unused:UNUSED_PAD src0_sel:DWORD src1_sel:WORD_1
	v_fma_f16 v6, v6, v47, -v51
	v_fma_f16 v31, v31, v47, v52
	v_mul_f16_sdwa v53, v33, v46 dst_sel:DWORD dst_unused:UNUSED_PAD src0_sel:DWORD src1_sel:WORD_1
	v_mul_f16_sdwa v54, v7, v46 dst_sel:DWORD dst_unused:UNUSED_PAD src0_sel:DWORD src1_sel:WORD_1
	v_sub_f16_e32 v6, v2, v6
	v_sub_f16_e32 v31, v21, v31
	v_fma_f16 v7, v7, v46, -v53
	v_fma_f16 v33, v33, v46, v54
	v_fma_f16 v2, v2, 2.0, -v6
	v_mul_f16_sdwa v55, v38, v45 dst_sel:DWORD dst_unused:UNUSED_PAD src0_sel:DWORD src1_sel:WORD_1
	v_mul_f16_sdwa v51, v50, v49 dst_sel:DWORD dst_unused:UNUSED_PAD src0_sel:DWORD src1_sel:WORD_1
	;; [unrolled: 1-line block ×4, first 2 shown]
	v_fma_f16 v5, v5, v49, -v51
	v_fma_f16 v50, v50, v49, v52
	v_fma_f16 v51, v21, 2.0, -v31
	v_mul_f16_sdwa v56, v4, v45 dst_sel:DWORD dst_unused:UNUSED_PAD src0_sel:DWORD src1_sel:WORD_1
	v_mul_f16_sdwa v53, v26, v48 dst_sel:DWORD dst_unused:UNUSED_PAD src0_sel:DWORD src1_sel:WORD_1
	v_fma_f16 v26, v26, v48, v54
	v_sub_f16_e32 v7, v3, v7
	v_sub_f16_e32 v33, v32, v33
	;; [unrolled: 1-line block ×3, first 2 shown]
	v_add_lshl_u32 v50, v12, v13, 2
	v_pack_b32_f16 v2, v2, v51
	v_pack_b32_f16 v6, v6, v31
	v_fma_f16 v4, v4, v45, -v55
	v_fma_f16 v38, v38, v45, v56
	v_fma_f16 v3, v3, 2.0, -v7
	v_fma_f16 v32, v32, 2.0, -v33
	ds_write2_b32 v50, v2, v6 offset1:13
	v_mad_legacy_u16 v2, v15, 26, v18
	v_fma_f16 v25, v25, v48, -v53
	v_sub_f16_e32 v4, v0, v4
	v_sub_f16_e32 v53, v34, v38
	v_lshlrev_b32_e32 v51, 2, v2
	v_pack_b32_f16 v2, v3, v32
	v_pack_b32_f16 v3, v7, v33
	v_fma_f16 v0, v0, 2.0, -v4
	v_fma_f16 v34, v34, 2.0, -v53
	ds_write2_b32 v51, v2, v3 offset1:13
	v_mad_legacy_u16 v2, v27, 26, v28
	v_sub_f16_e32 v5, v1, v5
	v_lshlrev_b32_e32 v52, 2, v2
	v_pack_b32_f16 v0, v0, v34
	v_pack_b32_f16 v2, v4, v53
	v_sub_f16_e32 v21, v16, v25
	v_fma_f16 v1, v1, 2.0, -v5
	v_fma_f16 v25, v40, 2.0, -v54
	ds_write2_b32 v52, v0, v2 offset1:13
	v_mad_legacy_u16 v0, v14, 26, v11
	v_sub_f16_e32 v38, v17, v26
	v_lshlrev_b32_e32 v53, 2, v0
	v_pack_b32_f16 v0, v1, v25
	v_pack_b32_f16 v1, v5, v54
	ds_write2_b32 v53, v0, v1 offset1:13
	s_and_saveexec_b64 s[4:5], s[2:3]
	s_cbranch_execz .LBB0_11
; %bb.10:
	v_fma_f16 v0, v16, 2.0, -v21
	v_fma_f16 v1, v17, 2.0, -v38
	v_mad_legacy_u16 v2, v43, 26, v44
	s_mov_b32 s6, 0x5040100
	v_lshlrev_b32_e32 v2, 2, v2
	v_pack_b32_f16 v0, v0, v1
	v_perm_b32 v1, v38, v21, s6
	ds_write2_b32 v2, v0, v1 offset1:13
.LBB0_11:
	s_or_b64 exec, exec, s[4:5]
	v_mul_lo_u16_sdwa v0, v42, s18 dst_sel:DWORD dst_unused:UNUSED_PAD src0_sel:BYTE_0 src1_sel:DWORD
	v_lshrrev_b16_e32 v17, 11, v0
	v_mul_lo_u16_e32 v0, 26, v17
	v_sub_u16_e32 v0, v42, v0
	v_lshrrev_b32_e32 v10, 19, v10
	v_and_b32_e32 v18, 0xff, v0
	v_mul_lo_u16_e32 v0, 26, v10
	v_sub_u16_e32 v27, v29, v0
	v_lshlrev_b16_e32 v0, 3, v27
	v_lshlrev_b32_e32 v2, 3, v18
	v_mov_b32_e32 v3, s17
	v_add_co_u32_e32 v0, vcc, s16, v0
	v_lshrrev_b32_e32 v9, 19, v9
	s_waitcnt lgkmcnt(0)
	s_barrier
	v_addc_co_u32_e32 v1, vcc, 0, v3, vcc
	global_load_dwordx2 v[13:14], v2, s[16:17] offset:52
	global_load_dwordx2 v[11:12], v[0:1], off offset:52
	v_mul_lo_u16_e32 v0, 26, v9
	v_sub_u16_e32 v28, v23, v0
	v_lshlrev_b16_e32 v0, 3, v28
	v_add_co_u32_e32 v0, vcc, s16, v0
	v_addc_co_u32_e32 v1, vcc, 0, v3, vcc
	global_load_dwordx2 v[15:16], v[0:1], off offset:52
	v_add_u32_e32 v2, 0x500, v41
	v_add_u32_e32 v4, 0x1000, v41
	;; [unrolled: 1-line block ×3, first 2 shown]
	ds_read2_b32 v[0:1], v41 offset1:182
	ds_read_b32 v25, v41 offset:5824
	ds_read2_b32 v[2:3], v2 offset0:44 offset1:226
	ds_read2_b32 v[4:5], v4 offset0:68 offset1:250
	;; [unrolled: 1-line block ×3, first 2 shown]
	s_movk_i32 s4, 0x3aee
	s_mov_b32 s5, 0xbaee
	s_waitcnt lgkmcnt(2)
	v_lshrrev_b32_e32 v33, 16, v3
	s_waitcnt lgkmcnt(1)
	v_lshrrev_b32_e32 v34, 16, v4
	v_lshrrev_b32_e32 v32, 16, v25
	;; [unrolled: 1-line block ×3, first 2 shown]
	s_waitcnt lgkmcnt(0)
	v_lshrrev_b32_e32 v40, 16, v6
	v_lshrrev_b32_e32 v54, 16, v5
	;; [unrolled: 1-line block ×5, first 2 shown]
	s_waitcnt vmcnt(0)
	s_barrier
	v_mul_f16_sdwa v57, v33, v13 dst_sel:DWORD dst_unused:UNUSED_PAD src0_sel:DWORD src1_sel:WORD_1
	v_mul_f16_sdwa v58, v3, v13 dst_sel:DWORD dst_unused:UNUSED_PAD src0_sel:DWORD src1_sel:WORD_1
	;; [unrolled: 1-line block ×4, first 2 shown]
	v_fma_f16 v3, v3, v13, -v57
	v_fma_f16 v33, v33, v13, v58
	v_fma_f16 v4, v4, v14, -v59
	v_fma_f16 v34, v34, v14, v60
	v_mul_f16_sdwa v61, v40, v11 dst_sel:DWORD dst_unused:UNUSED_PAD src0_sel:DWORD src1_sel:WORD_1
	v_mul_f16_sdwa v67, v32, v16 dst_sel:DWORD dst_unused:UNUSED_PAD src0_sel:DWORD src1_sel:WORD_1
	v_mul_f16_sdwa v62, v6, v11 dst_sel:DWORD dst_unused:UNUSED_PAD src0_sel:DWORD src1_sel:WORD_1
	v_mul_f16_sdwa v63, v54, v12 dst_sel:DWORD dst_unused:UNUSED_PAD src0_sel:DWORD src1_sel:WORD_1
	v_mul_f16_sdwa v68, v25, v16 dst_sel:DWORD dst_unused:UNUSED_PAD src0_sel:DWORD src1_sel:WORD_1
	v_fma_f16 v57, v25, v16, -v67
	v_add_f16_e32 v25, v0, v3
	v_add_f16_e32 v58, v3, v4
	v_sub_f16_e32 v59, v33, v34
	v_add_f16_e32 v60, v26, v33
	v_add_f16_e32 v33, v33, v34
	v_mul_f16_sdwa v64, v5, v12 dst_sel:DWORD dst_unused:UNUSED_PAD src0_sel:DWORD src1_sel:WORD_1
	v_fma_f16 v6, v6, v11, -v61
	v_fma_f16 v40, v40, v11, v62
	v_fma_f16 v5, v5, v12, -v63
	v_sub_f16_e32 v3, v3, v4
	v_add_f16_e32 v4, v25, v4
	v_fma_f16 v0, v58, -0.5, v0
	v_fma_f16 v25, v33, -0.5, v26
	v_fma_f16 v54, v54, v12, v64
	v_add_f16_e32 v62, v6, v5
	v_add_f16_e32 v34, v60, v34
	v_fma_f16 v60, v59, s4, v0
	v_fma_f16 v0, v59, s5, v0
	;; [unrolled: 1-line block ×4, first 2 shown]
	v_add_f16_e32 v25, v31, v40
	v_mul_f16_sdwa v65, v56, v15 dst_sel:DWORD dst_unused:UNUSED_PAD src0_sel:DWORD src1_sel:WORD_1
	v_add_f16_e32 v61, v1, v6
	v_fma_f16 v1, v62, -0.5, v1
	v_add_f16_e32 v62, v25, v54
	v_add_f16_e32 v25, v40, v54
	v_mul_f16_sdwa v66, v7, v15 dst_sel:DWORD dst_unused:UNUSED_PAD src0_sel:DWORD src1_sel:WORD_1
	v_fma_f16 v7, v7, v15, -v65
	v_add_f16_e32 v33, v61, v5
	v_fma_f16 v25, v25, -0.5, v31
	v_sub_f16_e32 v5, v6, v5
	v_fma_f16 v6, v5, s5, v25
	v_fma_f16 v5, v5, s4, v25
	v_add_f16_e32 v25, v2, v7
	v_fma_f16 v56, v56, v15, v66
	v_fma_f16 v32, v32, v16, v68
	v_add_f16_e32 v31, v25, v57
	v_add_f16_e32 v25, v7, v57
	v_fma_f16 v2, v25, -0.5, v2
	v_sub_f16_e32 v26, v56, v32
	v_fma_f16 v25, v26, s4, v2
	v_fma_f16 v26, v26, s5, v2
	v_add_f16_e32 v2, v55, v56
	v_add_f16_e32 v2, v2, v32
	;; [unrolled: 1-line block ×3, first 2 shown]
	v_fma_f16 v32, v32, -0.5, v55
	v_sub_f16_e32 v7, v7, v57
	v_sub_f16_e32 v63, v40, v54
	v_fma_f16 v40, v7, s5, v32
	v_fma_f16 v58, v7, s4, v32
	v_mul_u32_u24_e32 v7, 0x4e, v17
	v_fma_f16 v61, v63, s4, v1
	s_movk_i32 s4, 0x4e
	v_add_lshl_u32 v54, v7, v18, 2
	v_pack_b32_f16 v0, v0, v3
	ds_write_b32 v54, v0 offset:208
	v_mad_legacy_u16 v0, v10, s4, v27
	v_fma_f16 v1, v63, s5, v1
	v_pack_b32_f16 v4, v4, v34
	v_pack_b32_f16 v7, v60, v59
	v_lshlrev_b32_e32 v55, 2, v0
	v_pack_b32_f16 v0, v33, v62
	v_pack_b32_f16 v3, v61, v6
	ds_write2_b32 v54, v4, v7 offset1:26
	ds_write2_b32 v55, v0, v3 offset1:26
	v_pack_b32_f16 v0, v1, v5
	ds_write_b32 v55, v0 offset:208
	v_mad_legacy_u16 v0, v9, s4, v28
	v_lshlrev_b32_e32 v56, 2, v0
	v_pack_b32_f16 v0, v31, v2
	v_pack_b32_f16 v1, v25, v40
	ds_write2_b32 v56, v0, v1 offset1:26
	v_pack_b32_f16 v0, v26, v58
	ds_write_b32 v56, v0 offset:208
	v_add_u32_e32 v0, 0x700, v41
	s_waitcnt lgkmcnt(0)
	s_barrier
	ds_read2_b32 v[31:32], v0 offset0:20 offset1:254
	v_add_u32_e32 v0, 0xe80, v41
	ds_read2_b32 v[27:28], v41 offset1:234
	ds_read2_b32 v[33:34], v0 offset0:8 offset1:242
	ds_read_b32 v57, v41 offset:5616
	v_cmp_gt_u16_e64 s[4:5], 52, v42
                                        ; implicit-def: $vgpr59
                                        ; implicit-def: $vgpr60
	s_and_saveexec_b64 s[6:7], s[4:5]
	s_cbranch_execz .LBB0_13
; %bb.12:
	v_add_u32_e32 v0, 0x2c0, v41
	ds_read2_b32 v[25:26], v0 offset0:6 offset1:240
	v_add_u32_e32 v0, 0xa00, v41
	v_add_u32_e32 v1, 0x1140, v41
	ds_read2_b32 v[21:22], v0 offset0:10 offset1:244
	ds_read2_b32 v[19:20], v1 offset0:14 offset1:248
	ds_read_b32 v59, v41 offset:6344
	s_waitcnt lgkmcnt(3)
	v_lshrrev_b32_e32 v40, 16, v25
	v_lshrrev_b32_e32 v58, 16, v26
	s_waitcnt lgkmcnt(2)
	v_lshrrev_b32_e32 v38, 16, v21
	v_lshrrev_b32_e32 v36, 16, v22
	;; [unrolled: 3-line block ×3, first 2 shown]
	s_waitcnt lgkmcnt(0)
	v_lshrrev_b32_e32 v60, 16, v59
.LBB0_13:
	s_or_b64 exec, exec, s[6:7]
	v_lshrrev_b16_e32 v0, 1, v29
	v_mul_u32_u24_e32 v0, 0x6907, v0
	v_lshrrev_b32_e32 v0, 20, v0
	v_mul_lo_u16_e32 v0, 0x4e, v0
	v_sub_u16_e32 v66, v29, v0
	v_mul_lo_u16_e32 v0, 24, v66
	v_mov_b32_e32 v1, s17
	v_add_co_u32_e32 v4, vcc, s16, v0
	v_addc_co_u32_e32 v5, vcc, 0, v1, vcc
	global_load_dwordx4 v[0:3], v[4:5], off offset:260
	global_load_dwordx2 v[9:10], v[4:5], off offset:276
	v_lshrrev_b16_e32 v4, 1, v42
	v_and_b32_e32 v4, 0x7f, v4
	v_mul_lo_u16_e32 v4, 0xd3, v4
	v_lshrrev_b16_e32 v67, 13, v4
	v_mul_lo_u16_e32 v4, 0x4e, v67
	v_sub_u16_e32 v4, v42, v4
	v_and_b32_e32 v68, 0xff, v4
	v_mad_u64_u32 v[61:62], s[6:7], v68, 24, s[16:17]
	global_load_dwordx4 v[4:7], v[61:62], off offset:260
	global_load_dwordx2 v[17:18], v[61:62], off offset:276
	s_waitcnt lgkmcnt(2)
	v_lshrrev_b32_e32 v61, 16, v28
	v_lshrrev_b32_e32 v62, 16, v31
	s_waitcnt lgkmcnt(1)
	v_lshrrev_b32_e32 v65, 16, v34
	s_waitcnt lgkmcnt(0)
	v_lshrrev_b32_e32 v69, 16, v57
	v_lshrrev_b32_e32 v63, 16, v32
	;; [unrolled: 1-line block ×3, first 2 shown]
	s_movk_i32 s6, 0x2b26
	s_movk_i32 s7, 0x3b00
	s_mov_b32 s18, 0xbcab
	s_movk_i32 s19, 0x39e0
	s_mov_b32 s20, 0xb9e0
	;; [unrolled: 2-line block ×3, first 2 shown]
	s_movk_i32 s23, 0x370e
	s_waitcnt vmcnt(0)
	s_barrier
	v_mul_f16_sdwa v70, v58, v0 dst_sel:DWORD dst_unused:UNUSED_PAD src0_sel:DWORD src1_sel:WORD_1
	v_mul_f16_sdwa v71, v26, v0 dst_sel:DWORD dst_unused:UNUSED_PAD src0_sel:DWORD src1_sel:WORD_1
	v_mul_f16_sdwa v72, v38, v1 dst_sel:DWORD dst_unused:UNUSED_PAD src0_sel:DWORD src1_sel:WORD_1
	v_mul_f16_sdwa v73, v21, v1 dst_sel:DWORD dst_unused:UNUSED_PAD src0_sel:DWORD src1_sel:WORD_1
	v_mul_f16_sdwa v78, v37, v9 dst_sel:DWORD dst_unused:UNUSED_PAD src0_sel:DWORD src1_sel:WORD_1
	v_mul_f16_sdwa v79, v20, v9 dst_sel:DWORD dst_unused:UNUSED_PAD src0_sel:DWORD src1_sel:WORD_1
	v_mul_f16_sdwa v80, v60, v10 dst_sel:DWORD dst_unused:UNUSED_PAD src0_sel:DWORD src1_sel:WORD_1
	v_mul_f16_sdwa v81, v59, v10 dst_sel:DWORD dst_unused:UNUSED_PAD src0_sel:DWORD src1_sel:WORD_1
	v_mul_f16_sdwa v74, v36, v2 dst_sel:DWORD dst_unused:UNUSED_PAD src0_sel:DWORD src1_sel:WORD_1
	v_mul_f16_sdwa v75, v22, v2 dst_sel:DWORD dst_unused:UNUSED_PAD src0_sel:DWORD src1_sel:WORD_1
	v_mul_f16_sdwa v76, v35, v3 dst_sel:DWORD dst_unused:UNUSED_PAD src0_sel:DWORD src1_sel:WORD_1
	v_mul_f16_sdwa v77, v19, v3 dst_sel:DWORD dst_unused:UNUSED_PAD src0_sel:DWORD src1_sel:WORD_1
	v_fma_f16 v26, v26, v0, -v70
	v_fma_f16 v58, v58, v0, v71
	v_fma_f16 v21, v21, v1, -v72
	v_fma_f16 v38, v38, v1, v73
	v_fma_f16 v20, v20, v9, -v78
	v_fma_f16 v37, v37, v9, v79
	v_fma_f16 v59, v59, v10, -v80
	v_fma_f16 v60, v60, v10, v81
	v_mul_f16_sdwa v70, v61, v4 dst_sel:DWORD dst_unused:UNUSED_PAD src0_sel:DWORD src1_sel:WORD_1
	v_mul_f16_sdwa v71, v28, v4 dst_sel:DWORD dst_unused:UNUSED_PAD src0_sel:DWORD src1_sel:WORD_1
	;; [unrolled: 1-line block ×8, first 2 shown]
	v_fma_f16 v22, v22, v2, -v74
	v_fma_f16 v36, v36, v2, v75
	v_fma_f16 v19, v19, v3, -v76
	v_fma_f16 v35, v35, v3, v77
	v_mul_f16_sdwa v74, v63, v6 dst_sel:DWORD dst_unused:UNUSED_PAD src0_sel:DWORD src1_sel:WORD_1
	v_mul_f16_sdwa v75, v32, v6 dst_sel:DWORD dst_unused:UNUSED_PAD src0_sel:DWORD src1_sel:WORD_1
	;; [unrolled: 1-line block ×4, first 2 shown]
	v_fma_f16 v28, v28, v4, -v70
	v_fma_f16 v61, v61, v4, v71
	v_fma_f16 v31, v31, v5, -v72
	v_fma_f16 v62, v62, v5, v73
	;; [unrolled: 2-line block ×6, first 2 shown]
	v_add_f16_e32 v70, v28, v57
	v_add_f16_e32 v71, v61, v69
	v_sub_f16_e32 v28, v28, v57
	v_sub_f16_e32 v57, v61, v69
	v_add_f16_e32 v61, v31, v34
	v_add_f16_e32 v69, v62, v65
	v_sub_f16_e32 v31, v31, v34
	v_sub_f16_e32 v34, v62, v65
	;; [unrolled: 4-line block ×4, first 2 shown]
	v_sub_f16_e32 v70, v70, v62
	v_sub_f16_e32 v71, v71, v65
	;; [unrolled: 1-line block ×4, first 2 shown]
	v_add_f16_e32 v74, v32, v31
	v_add_f16_e32 v75, v33, v34
	v_sub_f16_e32 v76, v32, v31
	v_sub_f16_e32 v77, v33, v34
	;; [unrolled: 1-line block ×4, first 2 shown]
	v_add_f16_e32 v62, v62, v63
	v_add_f16_e32 v63, v65, v64
	v_sub_f16_e32 v32, v28, v32
	v_sub_f16_e32 v33, v57, v33
	v_add_f16_e32 v28, v74, v28
	v_add_f16_e32 v57, v75, v57
	;; [unrolled: 1-line block ×3, first 2 shown]
	v_add_f16_sdwa v75, v27, v63 dst_sel:DWORD dst_unused:UNUSED_PAD src0_sel:WORD_1 src1_sel:DWORD
	v_mul_f16_e32 v27, 0x3a52, v70
	v_mul_f16_e32 v64, 0x3a52, v71
	;; [unrolled: 1-line block ×8, first 2 shown]
	v_fma_f16 v62, v62, s18, v74
	v_fma_f16 v63, v63, s18, v75
	;; [unrolled: 1-line block ×4, first 2 shown]
	v_fma_f16 v65, v72, s19, -v65
	v_fma_f16 v70, v73, s19, -v70
	;; [unrolled: 1-line block ×4, first 2 shown]
	v_fma_f16 v72, v32, s21, v71
	v_fma_f16 v73, v33, s21, v76
	v_fma_f16 v31, v31, s7, -v71
	v_fma_f16 v32, v32, s22, -v77
	;; [unrolled: 1-line block ×3, first 2 shown]
	v_add_f16_e32 v61, v61, v62
	v_add_f16_e32 v69, v69, v63
	;; [unrolled: 1-line block ×6, first 2 shown]
	v_fma_f16 v63, v28, s23, v72
	v_fma_f16 v31, v28, s23, v31
	v_fma_f16 v28, v28, s23, v32
	v_fma_f16 v32, v57, s23, v33
	v_fma_f16 v34, v34, s7, -v76
	v_add_f16_e32 v71, v32, v27
	v_sub_f16_e32 v72, v62, v28
	v_add_f16_e32 v76, v31, v70
	v_sub_f16_e32 v70, v70, v31
	v_sub_f16_e32 v32, v27, v32
	v_add_f16_e32 v77, v28, v62
	v_add_f16_e32 v27, v26, v59
	;; [unrolled: 1-line block ×3, first 2 shown]
	v_sub_f16_e32 v26, v26, v59
	v_sub_f16_e32 v31, v58, v60
	v_add_f16_e32 v58, v21, v20
	v_add_f16_e32 v59, v38, v37
	v_fma_f16 v64, v57, s23, v73
	v_fma_f16 v34, v57, s23, v34
	v_sub_f16_e32 v20, v21, v20
	v_sub_f16_e32 v21, v38, v37
	v_add_f16_e32 v37, v22, v19
	v_add_f16_e32 v38, v36, v35
	v_sub_f16_e32 v19, v19, v22
	v_sub_f16_e32 v22, v35, v36
	v_add_f16_e32 v35, v58, v27
	v_add_f16_e32 v36, v59, v28
	;; [unrolled: 1-line block ×3, first 2 shown]
	v_sub_f16_e32 v57, v69, v63
	v_sub_f16_e32 v73, v65, v34
	v_add_f16_e32 v34, v34, v65
	v_sub_f16_e32 v78, v61, v64
	v_add_f16_e32 v69, v63, v69
	v_sub_f16_e32 v60, v58, v27
	v_sub_f16_e32 v61, v59, v28
	;; [unrolled: 1-line block ×6, first 2 shown]
	v_add_f16_e32 v63, v22, v21
	v_sub_f16_e32 v65, v22, v21
	v_sub_f16_e32 v21, v21, v31
	v_add_f16_e32 v35, v37, v35
	v_add_f16_e32 v36, v38, v36
	;; [unrolled: 1-line block ×3, first 2 shown]
	v_sub_f16_e32 v64, v19, v20
	v_sub_f16_e32 v79, v26, v19
	;; [unrolled: 1-line block ×4, first 2 shown]
	v_add_f16_e32 v37, v63, v31
	v_add_f16_e32 v19, v25, v35
	;; [unrolled: 1-line block ×3, first 2 shown]
	v_mul_f16_e32 v25, 0x3a52, v27
	v_mul_f16_e32 v27, 0x3a52, v28
	v_mul_f16_e32 v28, 0x2b26, v58
	v_mul_f16_e32 v31, 0x2b26, v59
	v_mul_f16_e32 v40, 0xb846, v65
	v_mul_f16_e32 v63, 0x3b00, v21
	v_add_f16_e32 v26, v62, v26
	v_mul_f16_e32 v38, 0xb846, v64
	v_mul_f16_e32 v62, 0x3b00, v80
	v_fma_f16 v35, v35, s18, v19
	v_fma_f16 v36, v36, s18, v20
	;; [unrolled: 1-line block ×4, first 2 shown]
	v_fma_f16 v28, v60, s19, -v28
	v_fma_f16 v31, v61, s19, -v31
	;; [unrolled: 1-line block ×4, first 2 shown]
	v_fma_f16 v61, v22, s21, v40
	v_fma_f16 v40, v21, s7, -v40
	v_fma_f16 v63, v22, s22, -v63
	v_fma_f16 v60, v79, s21, v38
	v_fma_f16 v38, v80, s7, -v38
	v_fma_f16 v62, v79, s22, -v62
	v_add_f16_e32 v21, v58, v35
	v_add_f16_e32 v28, v28, v35
	;; [unrolled: 1-line block ×4, first 2 shown]
	v_fma_f16 v31, v37, s23, v61
	v_fma_f16 v40, v37, s23, v40
	;; [unrolled: 1-line block ×3, first 2 shown]
	v_add_f16_e32 v22, v59, v36
	v_fma_f16 v25, v26, s23, v60
	v_fma_f16 v38, v26, s23, v38
	;; [unrolled: 1-line block ×3, first 2 shown]
	v_add_f16_e32 v26, v37, v35
	v_sub_f16_e32 v65, v35, v37
	v_mul_u32_u24_e32 v35, 0x222, v67
	v_add_lshl_u32 v60, v35, v68, 2
	v_pack_b32_f16 v35, v74, v75
	v_pack_b32_f16 v33, v33, v57
	ds_write2_b32 v60, v35, v33 offset1:78
	v_pack_b32_f16 v33, v71, v72
	v_pack_b32_f16 v35, v73, v76
	v_add_f16_e32 v36, v27, v36
	ds_write2_b32 v60, v33, v35 offset0:156 offset1:234
	v_pack_b32_f16 v33, v34, v70
	v_pack_b32_f16 v32, v32, v77
	v_add_u32_e32 v34, 0x400, v60
	v_sub_f16_e32 v61, v36, v59
	v_sub_f16_e32 v27, v28, v40
	v_add_f16_e32 v62, v38, v58
	v_add_f16_e32 v28, v40, v28
	v_sub_f16_e32 v63, v58, v38
	v_add_f16_e32 v64, v59, v36
	v_sub_f16_e32 v58, v21, v31
	v_add_f16_e32 v59, v25, v22
	ds_write2_b32 v34, v33, v32 offset0:56 offset1:134
	v_pack_b32_f16 v32, v78, v69
	v_lshlrev_b32_e32 v57, 2, v66
	ds_write_b32 v60, v32 offset:1872
	s_and_saveexec_b64 s[6:7], s[4:5]
	s_cbranch_execz .LBB0_15
; %bb.14:
	v_sub_f16_e32 v22, v22, v25
	v_add_f16_e32 v21, v31, v21
	s_mov_b32 s18, 0x5040100
	v_perm_b32 v19, v20, v19, s18
	v_pack_b32_f16 v20, v21, v22
	v_add_u32_e32 v21, 0x1000, v57
	ds_write2_b32 v21, v19, v20 offset0:68 offset1:146
	v_perm_b32 v19, v61, v26, s18
	v_perm_b32 v20, v62, v27, s18
	v_add_u32_e32 v21, 0x1200, v57
	ds_write2_b32 v21, v19, v20 offset0:96 offset1:174
	v_perm_b32 v19, v63, v28, s18
	v_perm_b32 v20, v64, v65, s18
	v_add_u32_e32 v21, 0x1400, v57
	ds_write2_b32 v21, v19, v20 offset0:124 offset1:202
	v_perm_b32 v19, v59, v58, s18
	ds_write_b32 v57, v19 offset:6240
.LBB0_15:
	s_or_b64 exec, exec, s[6:7]
	v_lshlrev_b64 v[21:22], 3, v[29:30]
	v_mov_b32_e32 v25, s17
	v_add_co_u32_e32 v21, vcc, s16, v21
	v_lshlrev_b64 v[23:24], 3, v[23:24]
	v_lshlrev_b32_e32 v19, 3, v42
	v_addc_co_u32_e32 v22, vcc, v25, v22, vcc
	s_waitcnt lgkmcnt(0)
	s_barrier
	global_load_dwordx2 v[19:20], v19, s[16:17] offset:2132
	v_add_co_u32_e32 v23, vcc, s16, v23
	v_addc_co_u32_e32 v24, vcc, v25, v24, vcc
	global_load_dwordx2 v[21:22], v[21:22], off offset:2132
	v_add_u32_e32 v38, 0x500, v41
	global_load_dwordx2 v[23:24], v[23:24], off offset:2132
	ds_read2_b32 v[32:33], v41 offset1:182
	v_add_u32_e32 v37, 0x1000, v41
	v_add_u32_e32 v40, 0xb00, v41
	ds_read_b32 v25, v41 offset:5824
	ds_read2_b32 v[72:73], v38 offset0:44 offset1:226
	ds_read2_b32 v[29:30], v37 offset0:68 offset1:250
	;; [unrolled: 1-line block ×3, first 2 shown]
	s_waitcnt lgkmcnt(4)
	v_lshrrev_b32_e32 v31, 16, v32
	s_movk_i32 s6, 0x3aee
	s_waitcnt lgkmcnt(2)
	v_lshrrev_b32_e32 v67, 16, v73
	s_waitcnt lgkmcnt(1)
	v_lshrrev_b32_e32 v68, 16, v29
	v_lshrrev_b32_e32 v66, 16, v25
	s_waitcnt lgkmcnt(0)
	v_lshrrev_b32_e32 v69, 16, v34
	v_lshrrev_b32_e32 v70, 16, v30
	;; [unrolled: 1-line block ×3, first 2 shown]
	s_mov_b32 s7, 0xbaee
	v_lshrrev_b32_e32 v36, 16, v33
	v_lshrrev_b32_e32 v74, 16, v72
	s_waitcnt vmcnt(2)
	v_mul_f16_sdwa v75, v67, v19 dst_sel:DWORD dst_unused:UNUSED_PAD src0_sel:DWORD src1_sel:WORD_1
	v_mul_f16_sdwa v77, v68, v20 dst_sel:DWORD dst_unused:UNUSED_PAD src0_sel:DWORD src1_sel:WORD_1
	v_mul_f16_sdwa v76, v73, v19 dst_sel:DWORD dst_unused:UNUSED_PAD src0_sel:DWORD src1_sel:WORD_1
	v_mul_f16_sdwa v78, v29, v20 dst_sel:DWORD dst_unused:UNUSED_PAD src0_sel:DWORD src1_sel:WORD_1
	v_fma_f16 v73, v73, v19, -v75
	v_fma_f16 v29, v29, v20, -v77
	v_fma_f16 v67, v67, v19, v76
	v_fma_f16 v68, v68, v20, v78
	s_waitcnt vmcnt(1)
	v_mul_f16_sdwa v75, v69, v21 dst_sel:DWORD dst_unused:UNUSED_PAD src0_sel:DWORD src1_sel:WORD_1
	v_mul_f16_sdwa v77, v70, v22 dst_sel:DWORD dst_unused:UNUSED_PAD src0_sel:DWORD src1_sel:WORD_1
	;; [unrolled: 1-line block ×3, first 2 shown]
	s_waitcnt vmcnt(0)
	v_mul_f16_sdwa v81, v66, v24 dst_sel:DWORD dst_unused:UNUSED_PAD src0_sel:DWORD src1_sel:WORD_1
	v_add_f16_e32 v84, v73, v29
	v_mul_f16_sdwa v76, v34, v21 dst_sel:DWORD dst_unused:UNUSED_PAD src0_sel:DWORD src1_sel:WORD_1
	v_mul_f16_sdwa v79, v71, v23 dst_sel:DWORD dst_unused:UNUSED_PAD src0_sel:DWORD src1_sel:WORD_1
	;; [unrolled: 1-line block ×3, first 2 shown]
	v_sub_f16_e32 v85, v67, v68
	v_add_f16_e32 v86, v31, v67
	v_add_f16_e32 v67, v67, v68
	v_fma_f16 v34, v34, v21, -v75
	v_fma_f16 v75, v30, v22, -v77
	v_fma_f16 v70, v70, v22, v78
	v_fma_f16 v78, v25, v24, -v81
	v_fma_f16 v25, v84, -0.5, v32
	v_mul_f16_sdwa v80, v35, v23 dst_sel:DWORD dst_unused:UNUSED_PAD src0_sel:DWORD src1_sel:WORD_1
	v_add_f16_e32 v83, v32, v73
	v_sub_f16_e32 v73, v73, v29
	v_fma_f16 v69, v69, v21, v76
	v_fma_f16 v76, v35, v23, -v79
	v_fma_f16 v32, v67, -0.5, v31
	v_fma_f16 v30, v85, s6, v25
	v_fma_f16 v31, v85, s7, v25
	v_add_f16_e32 v25, v33, v34
	v_add_f16_e32 v35, v34, v75
	v_fma_f16 v77, v71, v23, v80
	v_fma_f16 v79, v66, v24, v82
	v_add_f16_e32 v66, v86, v68
	v_fma_f16 v67, v73, s7, v32
	v_fma_f16 v68, v73, s6, v32
	v_sub_f16_e32 v71, v69, v70
	v_add_f16_e32 v80, v69, v70
	v_add_f16_e32 v32, v25, v75
	v_fma_f16 v25, v35, -0.5, v33
	v_add_f16_e32 v73, v36, v69
	v_sub_f16_e32 v81, v34, v75
	v_fma_f16 v35, v80, -0.5, v36
	v_fma_f16 v33, v71, s6, v25
	v_fma_f16 v34, v71, s7, v25
	v_add_f16_e32 v25, v72, v76
	v_add_f16_e32 v69, v73, v70
	v_fma_f16 v70, v81, s7, v35
	v_fma_f16 v71, v81, s6, v35
	v_add_f16_e32 v35, v25, v78
	v_add_f16_e32 v25, v76, v78
	v_fma_f16 v25, v25, -0.5, v72
	v_sub_f16_e32 v72, v77, v79
	v_add_f16_e32 v73, v77, v79
	v_add_f16_e32 v29, v83, v29
	v_fma_f16 v36, v72, s6, v25
	v_fma_f16 v25, v72, s7, v25
	v_add_f16_e32 v72, v74, v77
	v_fma_f16 v74, v73, -0.5, v74
	v_sub_f16_e32 v75, v76, v78
	v_fma_f16 v73, v75, s7, v74
	v_fma_f16 v74, v75, s6, v74
	v_pack_b32_f16 v75, v29, v66
	v_pack_b32_f16 v78, v32, v69
	v_add_f16_e32 v72, v72, v79
	v_pack_b32_f16 v77, v31, v68
	ds_write2_b32 v41, v75, v78 offset1:182
	v_pack_b32_f16 v78, v34, v71
	v_pack_b32_f16 v76, v30, v67
	ds_write2_b32 v37, v77, v78 offset0:68 offset1:250
	v_pack_b32_f16 v77, v35, v72
	v_pack_b32_f16 v75, v33, v70
	ds_write2_b32 v38, v77, v76 offset0:44 offset1:226
	v_pack_b32_f16 v38, v36, v73
	ds_write2_b32 v40, v75, v38 offset0:24 offset1:206
	v_pack_b32_f16 v38, v25, v74
	ds_write_b32 v41, v38 offset:5824
	s_waitcnt lgkmcnt(0)
	s_barrier
	s_and_saveexec_b64 s[6:7], s[0:1]
	s_cbranch_execz .LBB0_17
; %bb.16:
	v_mov_b32_e32 v38, s13
	v_add_co_u32_e32 v40, vcc, s12, v41
	v_addc_co_u32_e32 v38, vcc, 0, v38, vcc
	v_add_co_u32_e32 v75, vcc, 0x1998, v40
	v_addc_co_u32_e32 v76, vcc, 0, v38, vcc
	;; [unrolled: 2-line block ×3, first 2 shown]
	global_load_dword v79, v[77:78], off offset:2456
	global_load_dword v83, v[75:76], off offset:504
	;; [unrolled: 1-line block ×9, first 2 shown]
	s_movk_i32 s16, 0x2000
	v_add_co_u32_e32 v75, vcc, s16, v40
	v_addc_co_u32_e32 v76, vcc, 0, v38, vcc
	global_load_dword v91, v[75:76], off offset:2896
	global_load_dword v94, v[75:76], off offset:3400
	v_add_co_u32_e32 v77, vcc, 0x3000, v40
	ds_read_b32 v80, v41
	v_addc_co_u32_e32 v78, vcc, 0, v38, vcc
	global_load_dword v40, v[75:76], off offset:3904
	global_load_dword v95, v[77:78], off offset:312
	v_add_u32_e32 v92, 0x400, v41
	s_waitcnt lgkmcnt(0)
	v_lshrrev_b32_e32 v38, 16, v80
	v_add_u32_e32 v93, 0x800, v41
	s_waitcnt vmcnt(12)
	v_mul_f16_sdwa v75, v38, v79 dst_sel:DWORD dst_unused:UNUSED_PAD src0_sel:DWORD src1_sel:WORD_1
	v_mul_f16_sdwa v76, v80, v79 dst_sel:DWORD dst_unused:UNUSED_PAD src0_sel:DWORD src1_sel:WORD_1
	v_fma_f16 v75, v80, v79, -v75
	v_fma_f16 v38, v38, v79, v76
	v_pack_b32_f16 v38, v75, v38
	ds_write_b32 v41, v38
	ds_read2_b32 v[75:76], v41 offset0:126 offset1:252
	v_add_u32_e32 v38, 0xc00, v41
	ds_read2_b32 v[77:78], v92 offset0:122 offset1:248
	ds_read2_b32 v[79:80], v93 offset0:118 offset1:244
	;; [unrolled: 1-line block ×3, first 2 shown]
	s_waitcnt lgkmcnt(3)
	v_lshrrev_b32_e32 v96, 16, v75
	s_waitcnt vmcnt(11)
	v_mul_f16_sdwa v97, v75, v83 dst_sel:DWORD dst_unused:UNUSED_PAD src0_sel:DWORD src1_sel:WORD_1
	v_lshrrev_b32_e32 v98, 16, v76
	s_waitcnt vmcnt(10)
	v_mul_f16_sdwa v99, v76, v84 dst_sel:DWORD dst_unused:UNUSED_PAD src0_sel:DWORD src1_sel:WORD_1
	s_waitcnt lgkmcnt(2)
	v_lshrrev_b32_e32 v100, 16, v77
	s_waitcnt vmcnt(9)
	v_mul_f16_sdwa v101, v77, v85 dst_sel:DWORD dst_unused:UNUSED_PAD src0_sel:DWORD src1_sel:WORD_1
	v_lshrrev_b32_e32 v102, 16, v78
	s_waitcnt vmcnt(8)
	v_mul_f16_sdwa v103, v78, v86 dst_sel:DWORD dst_unused:UNUSED_PAD src0_sel:DWORD src1_sel:WORD_1
	s_waitcnt lgkmcnt(1)
	v_lshrrev_b32_e32 v104, 16, v79
	s_waitcnt vmcnt(7)
	v_mul_f16_sdwa v105, v79, v87 dst_sel:DWORD dst_unused:UNUSED_PAD src0_sel:DWORD src1_sel:WORD_1
	v_lshrrev_b32_e32 v106, 16, v80
	v_mul_f16_sdwa v110, v96, v83 dst_sel:DWORD dst_unused:UNUSED_PAD src0_sel:DWORD src1_sel:WORD_1
	v_fma_f16 v96, v96, v83, v97
	v_mul_f16_sdwa v97, v98, v84 dst_sel:DWORD dst_unused:UNUSED_PAD src0_sel:DWORD src1_sel:WORD_1
	v_fma_f16 v98, v98, v84, v99
	v_mul_f16_sdwa v99, v100, v85 dst_sel:DWORD dst_unused:UNUSED_PAD src0_sel:DWORD src1_sel:WORD_1
	s_waitcnt vmcnt(6)
	v_mul_f16_sdwa v107, v80, v88 dst_sel:DWORD dst_unused:UNUSED_PAD src0_sel:DWORD src1_sel:WORD_1
	v_fma_f16 v100, v100, v85, v101
	v_mul_f16_sdwa v101, v102, v86 dst_sel:DWORD dst_unused:UNUSED_PAD src0_sel:DWORD src1_sel:WORD_1
	v_fma_f16 v102, v102, v86, v103
	;; [unrolled: 2-line block ×3, first 2 shown]
	v_mul_f16_sdwa v105, v106, v88 dst_sel:DWORD dst_unused:UNUSED_PAD src0_sel:DWORD src1_sel:WORD_1
	v_fma_f16 v75, v75, v83, -v110
	v_fma_f16 v76, v76, v84, -v97
	;; [unrolled: 1-line block ×3, first 2 shown]
	v_fma_f16 v106, v106, v88, v107
	v_fma_f16 v78, v78, v86, -v101
	v_fma_f16 v79, v79, v87, -v103
	;; [unrolled: 1-line block ×3, first 2 shown]
	v_pack_b32_f16 v75, v75, v96
	v_pack_b32_f16 v76, v76, v98
	;; [unrolled: 1-line block ×6, first 2 shown]
	ds_write2_b32 v41, v75, v76 offset0:126 offset1:252
	ds_write2_b32 v92, v77, v78 offset0:122 offset1:248
	ds_write2_b32 v93, v79, v80 offset0:118 offset1:244
	s_waitcnt lgkmcnt(3)
	v_lshrrev_b32_e32 v77, 16, v82
	s_waitcnt vmcnt(4)
	v_mul_f16_sdwa v75, v77, v90 dst_sel:DWORD dst_unused:UNUSED_PAD src0_sel:DWORD src1_sel:WORD_1
	v_fma_f16 v78, v82, v90, -v75
	ds_read2_b32 v[75:76], v37 offset0:110 offset1:236
	v_lshrrev_b32_e32 v108, 16, v81
	v_mul_f16_sdwa v109, v81, v89 dst_sel:DWORD dst_unused:UNUSED_PAD src0_sel:DWORD src1_sel:WORD_1
	v_mul_f16_sdwa v107, v108, v89 dst_sel:DWORD dst_unused:UNUSED_PAD src0_sel:DWORD src1_sel:WORD_1
	;; [unrolled: 1-line block ×3, first 2 shown]
	v_fma_f16 v108, v108, v89, v109
	v_fma_f16 v81, v81, v89, -v107
	v_fma_f16 v77, v77, v90, v79
	v_pack_b32_f16 v81, v81, v108
	v_pack_b32_f16 v77, v78, v77
	ds_write2_b32 v38, v81, v77 offset0:114 offset1:240
	s_waitcnt lgkmcnt(1)
	v_lshrrev_b32_e32 v38, 16, v75
	s_waitcnt vmcnt(3)
	v_mul_f16_sdwa v77, v38, v91 dst_sel:DWORD dst_unused:UNUSED_PAD src0_sel:DWORD src1_sel:WORD_1
	v_fma_f16 v77, v75, v91, -v77
	v_mul_f16_sdwa v75, v75, v91 dst_sel:DWORD dst_unused:UNUSED_PAD src0_sel:DWORD src1_sel:WORD_1
	v_fma_f16 v38, v38, v91, v75
	v_lshrrev_b32_e32 v75, 16, v76
	v_pack_b32_f16 v38, v77, v38
	s_waitcnt vmcnt(2)
	v_mul_f16_sdwa v77, v75, v94 dst_sel:DWORD dst_unused:UNUSED_PAD src0_sel:DWORD src1_sel:WORD_1
	v_add_u32_e32 v80, 0x1400, v41
	v_fma_f16 v79, v76, v94, -v77
	ds_read2_b32 v[77:78], v80 offset0:106 offset1:232
	v_mul_f16_sdwa v76, v76, v94 dst_sel:DWORD dst_unused:UNUSED_PAD src0_sel:DWORD src1_sel:WORD_1
	v_fma_f16 v75, v75, v94, v76
	v_pack_b32_f16 v75, v79, v75
	ds_write2_b32 v37, v38, v75 offset0:110 offset1:236
	s_waitcnt lgkmcnt(1)
	v_lshrrev_b32_e32 v37, 16, v77
	s_waitcnt vmcnt(1)
	v_mul_f16_sdwa v38, v37, v40 dst_sel:DWORD dst_unused:UNUSED_PAD src0_sel:DWORD src1_sel:WORD_1
	v_mul_f16_sdwa v75, v77, v40 dst_sel:DWORD dst_unused:UNUSED_PAD src0_sel:DWORD src1_sel:WORD_1
	v_fma_f16 v38, v77, v40, -v38
	v_fma_f16 v37, v37, v40, v75
	v_pack_b32_f16 v37, v38, v37
	v_lshrrev_b32_e32 v38, 16, v78
	s_waitcnt vmcnt(0)
	v_mul_f16_sdwa v40, v38, v95 dst_sel:DWORD dst_unused:UNUSED_PAD src0_sel:DWORD src1_sel:WORD_1
	v_mul_f16_sdwa v75, v78, v95 dst_sel:DWORD dst_unused:UNUSED_PAD src0_sel:DWORD src1_sel:WORD_1
	v_fma_f16 v40, v78, v95, -v40
	v_fma_f16 v38, v38, v95, v75
	v_pack_b32_f16 v38, v40, v38
	ds_write2_b32 v80, v37, v38 offset0:106 offset1:232
.LBB0_17:
	s_or_b64 exec, exec, s[6:7]
	s_waitcnt lgkmcnt(0)
	s_barrier
	s_and_saveexec_b64 s[6:7], s[0:1]
	s_cbranch_execz .LBB0_19
; %bb.18:
	v_add_u32_e32 v25, 0x200, v41
	ds_read2_b32 v[31:32], v25 offset0:124 offset1:250
	v_add_u32_e32 v25, 0xa00, v41
	v_add_u32_e32 v26, 0x600, v41
	ds_read2_b32 v[35:36], v25 offset0:116 offset1:242
	v_add_u32_e32 v25, 0xe00, v41
	v_add_u32_e32 v27, 0x1200, v41
	ds_read2_b32 v[29:30], v41 offset1:126
	ds_read2_b32 v[33:34], v26 offset0:120 offset1:246
	ds_read2_b32 v[25:26], v25 offset0:112 offset1:238
	;; [unrolled: 1-line block ×3, first 2 shown]
	ds_read_b32 v65, v41 offset:6048
	s_waitcnt lgkmcnt(4)
	v_lshrrev_b32_e32 v66, 16, v29
	v_lshrrev_b32_e32 v67, 16, v30
	;; [unrolled: 1-line block ×4, first 2 shown]
	s_waitcnt lgkmcnt(3)
	v_lshrrev_b32_e32 v70, 16, v33
	v_lshrrev_b32_e32 v71, 16, v34
	;; [unrolled: 1-line block ×4, first 2 shown]
	s_waitcnt lgkmcnt(2)
	v_lshrrev_b32_e32 v74, 16, v25
	v_lshrrev_b32_e32 v61, 16, v26
	s_waitcnt lgkmcnt(1)
	v_lshrrev_b32_e32 v62, 16, v27
	v_lshrrev_b32_e32 v63, 16, v28
	s_waitcnt lgkmcnt(0)
	v_lshrrev_b32_e32 v64, 16, v65
.LBB0_19:
	s_or_b64 exec, exec, s[6:7]
	v_sub_f16_e32 v111, v67, v64
	v_add_f16_e32 v99, v65, v30
	v_add_f16_e32 v103, v64, v67
	s_mov_b32 s19, 0xb5ac
	v_mul_f16_e32 v94, 0xbb7b, v111
	v_sub_f16_e32 v116, v30, v65
	s_mov_b32 s22, 0xbb7b
	v_mul_f16_e32 v97, 0xb5ac, v103
	v_fma_f16 v81, v99, s19, -v94
	v_add_f16_e32 v83, v29, v81
	v_fma_f16 v81, v116, s22, v97
	s_mov_b32 s20, 0xb9fd
	v_mul_f16_e32 v104, 0xb94e, v111
	v_add_f16_e32 v84, v66, v81
	s_mov_b32 s23, 0xb94e
	v_mul_f16_e32 v108, 0xb9fd, v103
	v_fma_f16 v81, v99, s20, -v104
	s_movk_i32 s16, 0x3b15
	v_mul_f16_e32 v78, 0xb770, v111
	v_add_f16_e32 v88, v29, v81
	v_fma_f16 v81, v116, s23, v108
	v_sub_f16_e32 v127, v68, v63
	s_mov_b32 s6, 0xb770
	v_mul_f16_e32 v79, 0x3b15, v103
	v_fma_f16 v37, v99, s16, -v78
	s_movk_i32 s17, 0x388b
	v_add_f16_e32 v91, v66, v81
	v_add_f16_e32 v114, v28, v31
	;; [unrolled: 1-line block ×3, first 2 shown]
	v_mul_f16_e32 v81, 0xba95, v127
	v_add_f16_e32 v37, v29, v37
	v_fma_f16 v38, v116, s6, v79
	s_mov_b32 s6, 0xba95
	v_sub_f16_e32 v133, v31, v28
	v_mul_f16_e32 v85, 0x388b, v119
	v_fma_f16 v87, v114, s17, -v81
	v_add_f16_e32 v38, v66, v38
	v_mul_f16_e32 v80, 0xba95, v111
	v_add_f16_e32 v37, v87, v37
	v_fma_f16 v87, v133, s6, v85
	v_mul_f16_e32 v82, 0x388b, v103
	v_fma_f16 v40, v99, s17, -v80
	v_add_f16_e32 v38, v87, v38
	v_mul_f16_e32 v87, 0xbb7b, v127
	v_add_f16_e32 v40, v29, v40
	v_fma_f16 v75, v116, s6, v82
	s_movk_i32 s18, 0x2fb7
	v_mul_f16_e32 v86, 0xbbf1, v111
	v_mul_f16_e32 v90, 0xb5ac, v119
	v_fma_f16 v92, v114, s19, -v87
	v_add_f16_e32 v75, v66, v75
	s_mov_b32 s7, 0xbbf1
	v_mul_f16_e32 v89, 0x2fb7, v103
	v_fma_f16 v76, v99, s18, -v86
	v_add_f16_e32 v40, v92, v40
	v_fma_f16 v92, v133, s22, v90
	s_mov_b32 s21, 0xbbc4
	v_mul_f16_e32 v95, 0xb3a8, v127
	v_add_f16_e32 v76, v29, v76
	v_fma_f16 v77, v116, s7, v89
	v_add_f16_e32 v75, v92, v75
	s_mov_b32 s24, 0xb3a8
	v_mul_f16_e32 v100, 0xbbc4, v119
	v_fma_f16 v92, v114, s21, -v95
	v_add_f16_e32 v77, v66, v77
	v_add_f16_e32 v76, v92, v76
	v_fma_f16 v92, v133, s24, v100
	v_mul_f16_e32 v105, 0x394e, v127
	v_add_f16_e32 v77, v92, v77
	s_movk_i32 s25, 0x394e
	v_mul_f16_e32 v110, 0xb9fd, v119
	v_fma_f16 v92, v114, s20, -v105
	v_add_f16_e32 v83, v92, v83
	v_fma_f16 v92, v133, s25, v110
	v_mul_f16_e32 v117, 0x3bf1, v127
	v_add_f16_e32 v84, v92, v84
	s_movk_i32 s26, 0x3bf1
	v_mul_f16_e32 v123, 0x2fb7, v119
	v_fma_f16 v92, v114, s18, -v117
	v_add_f16_e32 v92, v92, v88
	v_fma_f16 v88, v133, s26, v123
	v_sub_f16_e32 v140, v69, v62
	v_add_f16_e32 v91, v88, v91
	v_add_f16_e32 v129, v27, v32
	;; [unrolled: 1-line block ×3, first 2 shown]
	v_mul_f16_e32 v88, 0xbbf1, v140
	v_sub_f16_e32 v145, v32, v27
	v_mul_f16_e32 v93, 0x2fb7, v134
	v_fma_f16 v96, v129, s18, -v88
	v_add_f16_e32 v37, v96, v37
	v_fma_f16 v96, v145, s7, v93
	v_add_f16_e32 v38, v96, v38
	v_mul_f16_e32 v96, 0xb3a8, v140
	v_mul_f16_e32 v101, 0xbbc4, v134
	v_fma_f16 v98, v129, s21, -v96
	v_add_f16_e32 v40, v98, v40
	v_fma_f16 v98, v145, s24, v101
	v_mul_f16_e32 v106, 0x3b7b, v140
	v_add_f16_e32 v75, v98, v75
	s_movk_i32 s27, 0x3b7b
	v_mul_f16_e32 v112, 0xb5ac, v134
	v_fma_f16 v98, v129, s19, -v106
	v_add_f16_e32 v76, v98, v76
	v_fma_f16 v98, v145, s27, v112
	v_mul_f16_e32 v118, 0x3770, v140
	v_add_f16_e32 v77, v98, v77
	s_movk_i32 s27, 0x3770
	v_mul_f16_e32 v124, 0x3b15, v134
	v_fma_f16 v98, v129, s16, -v118
	v_add_f16_e32 v83, v98, v83
	v_fma_f16 v98, v145, s27, v124
	v_mul_f16_e32 v130, 0xba95, v140
	v_add_f16_e32 v84, v98, v84
	v_mul_f16_e32 v136, 0x388b, v134
	v_fma_f16 v98, v129, s17, -v130
	v_add_f16_e32 v92, v98, v92
	v_fma_f16 v98, v145, s6, v136
	v_sub_f16_e32 v149, v70, v61
	v_add_f16_e32 v91, v98, v91
	v_add_f16_e32 v141, v26, v33
	;; [unrolled: 1-line block ×3, first 2 shown]
	v_mul_f16_e32 v98, 0xbb7b, v149
	v_sub_f16_e32 v155, v33, v26
	v_mul_f16_e32 v102, 0xb5ac, v144
	v_fma_f16 v107, v141, s19, -v98
	v_add_f16_e32 v37, v107, v37
	v_fma_f16 v107, v155, s22, v102
	v_add_f16_e32 v38, v107, v38
	v_mul_f16_e32 v107, 0x394e, v149
	v_mul_f16_e32 v113, 0xb9fd, v144
	v_fma_f16 v109, v141, s20, -v107
	v_add_f16_e32 v40, v109, v40
	v_fma_f16 v109, v155, s25, v113
	v_mul_f16_e32 v120, 0x3770, v149
	v_add_f16_e32 v75, v109, v75
	v_mul_f16_e32 v125, 0x3b15, v144
	v_fma_f16 v109, v141, s16, -v120
	v_add_f16_e32 v76, v109, v76
	v_fma_f16 v109, v155, s27, v125
	v_mul_f16_e32 v131, 0xbbf1, v149
	v_add_f16_e32 v77, v109, v77
	;; [unrolled: 6-line block ×3, first 2 shown]
	s_movk_i32 s7, 0x33a8
	v_mul_f16_e32 v146, 0xbbc4, v144
	v_fma_f16 v109, v141, s21, -v142
	v_add_f16_e32 v92, v109, v92
	v_fma_f16 v109, v155, s7, v146
	v_sub_f16_e32 v158, v71, v74
	v_add_f16_e32 v91, v109, v91
	v_add_f16_e32 v151, v25, v34
	v_add_f16_e32 v154, v74, v71
	v_mul_f16_e32 v109, 0xb94e, v158
	v_sub_f16_e32 v162, v34, v25
	v_mul_f16_e32 v115, 0xb9fd, v154
	v_fma_f16 v121, v151, s20, -v109
	v_add_f16_e32 v37, v121, v37
	v_fma_f16 v121, v162, s23, v115
	v_add_f16_e32 v135, v121, v38
	v_mul_f16_e32 v121, 0x3bf1, v158
	v_mul_f16_e32 v126, 0x2fb7, v154
	v_fma_f16 v38, v151, s18, -v121
	v_add_f16_e32 v40, v38, v40
	v_fma_f16 v38, v162, s26, v126
	v_mul_f16_e32 v132, 0xba95, v158
	v_add_f16_e32 v148, v38, v75
	v_mul_f16_e32 v138, 0x388b, v154
	v_fma_f16 v38, v151, s17, -v132
	v_add_f16_e32 v166, v38, v76
	v_fma_f16 v38, v162, s6, v138
	v_mul_f16_e32 v143, 0x33a8, v158
	v_add_f16_e32 v77, v38, v77
	;; [unrolled: 6-line block ×3, first 2 shown]
	v_mul_f16_e32 v156, 0x3b15, v154
	v_fma_f16 v38, v151, s16, -v152
	v_sub_f16_e32 v164, v72, v73
	v_add_f16_e32 v150, v38, v92
	v_fma_f16 v38, v162, s27, v156
	v_add_f16_e32 v159, v36, v35
	v_add_f16_e32 v161, v73, v72
	v_mul_f16_e32 v122, 0xb3a8, v164
	v_add_f16_e32 v167, v38, v91
	v_sub_f16_e32 v165, v35, v36
	v_mul_f16_e32 v128, 0xbbc4, v161
	v_fma_f16 v38, v159, s21, -v122
	v_add_f16_e32 v38, v38, v37
	v_fma_f16 v37, v165, s24, v128
	v_add_f16_e32 v75, v37, v135
	v_mul_f16_e32 v135, 0x3770, v164
	v_mul_f16_e32 v139, 0x3b15, v161
	v_fma_f16 v37, v159, s16, -v135
	v_add_f16_e32 v37, v37, v40
	v_fma_f16 v40, v165, s27, v139
	v_add_f16_e32 v76, v40, v148
	v_mul_f16_e32 v148, 0xb9fd, v161
	v_fma_f16 v40, v165, s23, v148
	v_mul_f16_e32 v153, 0x3a95, v164
	v_add_f16_e32 v77, v40, v77
	s_movk_i32 s6, 0x3a95
	v_fma_f16 v40, v159, s17, -v153
	v_mul_f16_e32 v157, 0x388b, v161
	v_add_f16_e32 v91, v40, v83
	v_fma_f16 v40, v165, s6, v157
	v_mul_f16_e32 v160, 0xbb7b, v164
	v_add_f16_e32 v92, v40, v84
	v_fma_f16 v40, v159, s19, -v160
	v_mul_f16_e32 v163, 0xb5ac, v161
	v_add_f16_e32 v83, v40, v150
	v_fma_f16 v40, v165, s22, v163
	v_mul_f16_e32 v150, 0xb94e, v164
	v_add_f16_e32 v84, v40, v167
	v_fma_f16 v40, v159, s20, -v150
	v_add_f16_e32 v40, v40, v166
	s_barrier
	s_and_saveexec_b64 s[6:7], s[0:1]
	s_cbranch_execz .LBB0_21
; %bb.20:
	v_mul_f16_e32 v167, 0xb770, v116
	v_mul_f16_e32 v169, 0xba95, v116
	v_mul_f16_e32 v171, 0xbbf1, v116
	v_mul_f16_e32 v173, 0xbb7b, v116
	v_mul_f16_e32 v175, 0xb94e, v116
	v_mul_f16_e32 v116, 0xb3a8, v116
	v_mul_f16_e32 v177, 0xba95, v133
	v_mul_f16_e32 v179, 0xbb7b, v133
	v_mul_f16_e32 v181, 0xb3a8, v133
	v_mul_f16_e32 v183, 0x394e, v133
	v_mul_f16_e32 v185, 0x3bf1, v133
	v_fma_f16 v226, v103, s21, v116
	v_mul_f16_e32 v133, 0x3770, v133
	v_mul_f16_e32 v187, 0xbbf1, v145
	v_mul_f16_e32 v189, 0xb3a8, v145
	v_mul_f16_e32 v191, 0x3b7b, v145
	v_mul_f16_e32 v193, 0x3770, v145
	v_mul_f16_e32 v195, 0xba95, v145
	v_add_f16_e32 v226, v66, v226
	v_fma_f16 v227, v119, s16, v133
	v_mul_f16_e32 v145, 0xb94e, v145
	v_mul_f16_e32 v197, 0xbb7b, v155
	v_mul_f16_e32 v199, 0x394e, v155
	v_mul_f16_e32 v201, 0x3770, v155
	v_mul_f16_e32 v203, 0xbbf1, v155
	v_mul_f16_e32 v205, 0x33a8, v155
	v_add_f16_e32 v226, v227, v226
	;; [unrolled: 8-line block ×5, first 2 shown]
	v_fma_f16 v227, v161, s18, v165
	v_mul_f16_e32 v111, 0xb3a8, v111
	v_add_f16_e32 v226, v227, v226
	v_fma_f16 v227, v99, s21, -v111
	v_fma_f16 v99, v99, s21, v111
	v_add_f16_e32 v104, v174, v104
	v_add_f16_e32 v94, v172, v94
	;; [unrolled: 1-line block ×17, first 2 shown]
	v_mul_f16_e32 v127, 0x3770, v127
	v_add_f16_e32 v29, v35, v29
	v_mul_f16_e32 v140, 0xb94e, v140
	v_fma_f16 v111, v114, s16, v127
	v_add_f16_e32 v29, v36, v29
	v_mul_f16_e32 v149, 0x3a95, v149
	v_add_f16_e32 v99, v111, v99
	v_fma_f16 v111, v129, s20, v140
	v_add_f16_e32 v25, v25, v29
	v_mul_f16_e32 v158, 0xbb7b, v158
	v_add_f16_e32 v99, v111, v99
	v_fma_f16 v111, v141, s17, v149
	v_add_f16_e32 v25, v26, v25
	v_add_f16_e32 v26, v67, v66
	v_mul_f16_e32 v164, 0x3bf1, v164
	v_add_f16_e32 v99, v111, v99
	v_fma_f16 v111, v151, s19, v158
	v_add_f16_e32 v26, v68, v26
	v_add_f16_e32 v99, v111, v99
	v_fma_f16 v111, v159, s18, v164
	v_sub_f16_e32 v108, v108, v175
	v_add_f16_e32 v26, v69, v26
	v_add_f16_e32 v99, v111, v99
	;; [unrolled: 1-line block ×3, first 2 shown]
	v_sub_f16_e32 v111, v123, v185
	v_add_f16_e32 v26, v70, v26
	v_add_f16_e32 v108, v111, v108
	v_sub_f16_e32 v111, v136, v195
	v_add_f16_e32 v26, v71, v26
	v_mul_f16_e32 v176, 0x388b, v114
	v_add_f16_e32 v108, v111, v108
	v_sub_f16_e32 v111, v146, v205
	v_sub_f16_e32 v79, v79, v167
	v_add_f16_e32 v26, v72, v26
	v_mul_f16_e32 v178, 0xb5ac, v114
	v_mul_f16_e32 v180, 0xbbc4, v114
	;; [unrolled: 1-line block ×3, first 2 shown]
	v_add_f16_e32 v108, v111, v108
	v_sub_f16_e32 v111, v156, v215
	v_sub_f16_e32 v89, v89, v171
	;; [unrolled: 1-line block ×3, first 2 shown]
	v_add_f16_e32 v79, v66, v79
	v_sub_f16_e32 v85, v85, v177
	v_add_f16_e32 v81, v176, v81
	v_add_f16_e32 v26, v73, v26
	v_mul_f16_e32 v182, 0xb9fd, v114
	v_mul_f16_e32 v184, 0x2fb7, v114
	;; [unrolled: 1-line block ×5, first 2 shown]
	v_add_f16_e32 v108, v111, v108
	v_sub_f16_e32 v111, v163, v225
	v_sub_f16_e32 v97, v97, v173
	v_add_f16_e32 v89, v66, v89
	v_sub_f16_e32 v100, v100, v181
	v_add_f16_e32 v95, v180, v95
	v_add_f16_e32 v82, v66, v82
	v_sub_f16_e32 v90, v90, v179
	v_add_f16_e32 v87, v178, v87
	;; [unrolled: 3-line block ×3, first 2 shown]
	v_add_f16_e32 v81, v186, v88
	v_add_f16_e32 v26, v74, v26
	v_mul_f16_e32 v192, 0x3b15, v129
	v_mul_f16_e32 v194, 0x388b, v129
	;; [unrolled: 1-line block ×5, first 2 shown]
	v_fma_f16 v103, v103, s21, -v116
	v_add_f16_e32 v108, v111, v108
	v_add_f16_e32 v111, v184, v117
	;; [unrolled: 1-line block ×3, first 2 shown]
	v_sub_f16_e32 v110, v110, v183
	v_add_f16_e32 v105, v182, v105
	v_add_f16_e32 v89, v100, v89
	v_sub_f16_e32 v100, v112, v191
	v_add_f16_e32 v86, v95, v86
	v_add_f16_e32 v95, v190, v106
	v_add_f16_e32 v82, v90, v82
	v_sub_f16_e32 v90, v101, v189
	v_add_f16_e32 v80, v87, v80
	v_add_f16_e32 v87, v188, v96
	v_add_f16_e32 v79, v85, v79
	v_sub_f16_e32 v85, v102, v197
	v_add_f16_e32 v78, v81, v78
	v_add_f16_e32 v81, v196, v98
	v_add_f16_e32 v26, v61, v26
	v_mul_f16_e32 v202, 0x2fb7, v141
	v_mul_f16_e32 v204, 0xbbc4, v141
	;; [unrolled: 1-line block ×5, first 2 shown]
	v_fma_f16 v228, v114, s16, -v127
	v_add_f16_e32 v103, v66, v103
	v_fma_f16 v116, v119, s16, -v133
	v_add_f16_e32 v104, v111, v104
	v_add_f16_e32 v111, v194, v130
	v_add_f16_e32 v97, v110, v97
	v_sub_f16_e32 v110, v124, v193
	v_add_f16_e32 v94, v105, v94
	v_add_f16_e32 v105, v192, v118
	v_add_f16_e32 v89, v100, v89
	v_sub_f16_e32 v100, v125, v201
	v_add_f16_e32 v86, v95, v86
	v_add_f16_e32 v95, v200, v120
	v_add_f16_e32 v82, v90, v82
	v_sub_f16_e32 v90, v113, v199
	v_add_f16_e32 v80, v87, v80
	v_add_f16_e32 v87, v198, v107
	v_add_f16_e32 v79, v85, v79
	v_sub_f16_e32 v85, v115, v207
	v_add_f16_e32 v78, v81, v78
	v_add_f16_e32 v81, v206, v109
	;; [unrolled: 1-line block ×4, first 2 shown]
	v_mul_f16_e32 v212, 0xbbc4, v151
	v_mul_f16_e32 v214, 0x3b15, v151
	;; [unrolled: 1-line block ×4, first 2 shown]
	v_add_f16_e32 v227, v228, v227
	v_fma_f16 v228, v129, s20, -v140
	v_add_f16_e32 v103, v116, v103
	v_fma_f16 v116, v134, s20, -v145
	v_add_f16_e32 v104, v111, v104
	v_add_f16_e32 v111, v204, v142
	v_add_f16_e32 v97, v110, v97
	v_sub_f16_e32 v110, v137, v203
	v_add_f16_e32 v94, v105, v94
	v_add_f16_e32 v105, v202, v131
	v_add_f16_e32 v89, v100, v89
	v_sub_f16_e32 v100, v138, v211
	;; [unrolled: 4-line block ×4, first 2 shown]
	v_add_f16_e32 v78, v81, v78
	v_add_f16_e32 v81, v216, v122
	;; [unrolled: 1-line block ×4, first 2 shown]
	v_mul_f16_e32 v222, 0x388b, v159
	v_mul_f16_e32 v224, 0xb5ac, v159
	v_add_f16_e32 v227, v228, v227
	v_fma_f16 v228, v141, s17, -v149
	v_add_f16_e32 v103, v116, v103
	v_fma_f16 v116, v144, s17, -v155
	v_add_f16_e32 v104, v111, v104
	v_add_f16_e32 v111, v214, v152
	v_add_f16_e32 v97, v110, v97
	v_sub_f16_e32 v110, v147, v213
	v_add_f16_e32 v94, v105, v94
	v_add_f16_e32 v105, v212, v143
	v_add_f16_e32 v89, v100, v89
	v_sub_f16_e32 v100, v148, v221
	;; [unrolled: 4-line block ×3, first 2 shown]
	v_add_f16_e32 v80, v87, v80
	v_add_f16_e32 v87, v218, v135
	v_add_f16_e32 v79, v85, v79
	v_add_f16_e32 v78, v81, v78
	v_add_f16_e32 v25, v65, v25
	v_add_f16_e32 v26, v64, v26
	v_add_f16_e32 v227, v228, v227
	v_fma_f16 v228, v151, s19, -v158
	v_add_f16_e32 v103, v116, v103
	v_fma_f16 v116, v154, s19, -v162
	v_add_f16_e32 v104, v111, v104
	v_add_f16_e32 v111, v224, v160
	;; [unrolled: 1-line block ×3, first 2 shown]
	v_sub_f16_e32 v110, v157, v223
	v_add_f16_e32 v94, v105, v94
	v_add_f16_e32 v105, v222, v153
	;; [unrolled: 1-line block ×6, first 2 shown]
	v_lshlrev_b32_e32 v27, 2, v39
	v_pack_b32_f16 v28, v78, v79
	v_pack_b32_f16 v25, v25, v26
	v_add_f16_e32 v227, v228, v227
	v_fma_f16 v228, v159, s18, -v164
	v_add_f16_e32 v103, v116, v103
	v_fma_f16 v116, v161, s18, -v165
	v_add_f16_e32 v104, v111, v104
	v_add_f16_e32 v97, v110, v97
	;; [unrolled: 1-line block ×3, first 2 shown]
	ds_write2_b32 v27, v25, v28 offset1:1
	v_pack_b32_f16 v25, v86, v89
	v_pack_b32_f16 v26, v80, v82
	v_add_f16_e32 v227, v228, v227
	v_add_f16_e32 v103, v116, v103
	ds_write2_b32 v27, v26, v25 offset0:2 offset1:3
	v_pack_b32_f16 v25, v104, v108
	v_pack_b32_f16 v26, v94, v97
	ds_write2_b32 v27, v26, v25 offset0:4 offset1:5
	v_pack_b32_f16 v25, v227, v226
	v_pack_b32_f16 v26, v99, v103
	s_mov_b32 s16, 0x5040100
	ds_write2_b32 v27, v26, v25 offset0:6 offset1:7
	v_perm_b32 v25, v92, v91, s16
	v_perm_b32 v26, v84, v83, s16
	ds_write2_b32 v27, v26, v25 offset0:8 offset1:9
	v_perm_b32 v25, v76, v37, s16
	v_perm_b32 v26, v77, v40, s16
	ds_write2_b32 v27, v26, v25 offset0:10 offset1:11
	v_perm_b32 v25, v75, v38, s16
	ds_write_b32 v27, v25 offset:48
.LBB0_21:
	s_or_b64 exec, exec, s[6:7]
	v_add_u32_e32 v25, 0xc00, v41
	s_waitcnt lgkmcnt(0)
	s_barrier
	ds_read2_b32 v[31:32], v25 offset0:51 offset1:233
	v_add_u32_e32 v25, 0x500, v41
	v_add_u32_e32 v29, 0x1200, v41
	ds_read2_b32 v[27:28], v41 offset1:182
	ds_read2_b32 v[25:26], v25 offset0:44 offset1:226
	ds_read2_b32 v[29:30], v29 offset0:31 offset1:213
	s_and_saveexec_b64 s[6:7], s[2:3]
	s_cbranch_execz .LBB0_23
; %bb.22:
	ds_read_b32 v83, v41 offset:2912
	ds_read_b32 v91, v41 offset:6188
	s_waitcnt lgkmcnt(1)
	v_lshrrev_b32_e32 v84, 16, v83
	s_waitcnt lgkmcnt(0)
	v_lshrrev_b32_e32 v92, 16, v91
.LBB0_23:
	s_or_b64 exec, exec, s[6:7]
	s_waitcnt lgkmcnt(3)
	v_lshrrev_b32_e32 v34, 16, v31
	v_mul_f16_sdwa v64, v47, v34 dst_sel:DWORD dst_unused:UNUSED_PAD src0_sel:WORD_1 src1_sel:DWORD
	v_lshrrev_b32_e32 v36, 16, v32
	v_fma_f16 v64, v47, v31, v64
	v_mul_f16_sdwa v31, v47, v31 dst_sel:DWORD dst_unused:UNUSED_PAD src0_sel:WORD_1 src1_sel:DWORD
	v_fma_f16 v31, v47, v34, -v31
	v_mul_f16_sdwa v34, v46, v36 dst_sel:DWORD dst_unused:UNUSED_PAD src0_sel:WORD_1 src1_sel:DWORD
	s_waitcnt lgkmcnt(0)
	v_lshrrev_b32_e32 v61, 16, v29
	v_fma_f16 v34, v46, v32, v34
	v_mul_f16_sdwa v32, v46, v32 dst_sel:DWORD dst_unused:UNUSED_PAD src0_sel:WORD_1 src1_sel:DWORD
	v_fma_f16 v32, v46, v36, -v32
	v_mul_f16_sdwa v36, v45, v61 dst_sel:DWORD dst_unused:UNUSED_PAD src0_sel:WORD_1 src1_sel:DWORD
	v_lshrrev_b32_e32 v63, 16, v30
	v_fma_f16 v36, v45, v29, v36
	v_mul_f16_sdwa v29, v45, v29 dst_sel:DWORD dst_unused:UNUSED_PAD src0_sel:WORD_1 src1_sel:DWORD
	v_lshrrev_b32_e32 v33, 16, v27
	v_fma_f16 v29, v45, v61, -v29
	v_mul_f16_sdwa v45, v49, v63 dst_sel:DWORD dst_unused:UNUSED_PAD src0_sel:WORD_1 src1_sel:DWORD
	v_mul_f16_sdwa v46, v48, v92 dst_sel:DWORD dst_unused:UNUSED_PAD src0_sel:WORD_1 src1_sel:DWORD
	;; [unrolled: 1-line block ×3, first 2 shown]
	v_lshrrev_b32_e32 v35, 16, v28
	v_fma_f16 v45, v49, v30, v45
	v_mul_f16_sdwa v30, v49, v30 dst_sel:DWORD dst_unused:UNUSED_PAD src0_sel:WORD_1 src1_sel:DWORD
	v_fma_f16 v46, v48, v91, v46
	v_fma_f16 v47, v48, v92, -v47
	v_sub_f16_e32 v48, v27, v64
	v_sub_f16_e32 v31, v33, v31
	v_lshrrev_b32_e32 v39, 16, v25
	v_fma_f16 v30, v49, v63, -v30
	v_fma_f16 v49, v27, 2.0, -v48
	v_fma_f16 v33, v33, 2.0, -v31
	v_sub_f16_e32 v34, v28, v34
	v_sub_f16_e32 v32, v35, v32
	v_lshrrev_b32_e32 v62, 16, v26
	v_fma_f16 v28, v28, 2.0, -v34
	v_fma_f16 v35, v35, 2.0, -v32
	v_sub_f16_e32 v36, v25, v36
	v_sub_f16_e32 v29, v39, v29
	v_pack_b32_f16 v33, v49, v33
	v_pack_b32_f16 v31, v48, v31
	v_fma_f16 v25, v25, 2.0, -v36
	v_fma_f16 v61, v39, 2.0, -v29
	v_sub_f16_e32 v45, v26, v45
	v_sub_f16_e32 v30, v62, v30
	s_barrier
	ds_write2_b32 v50, v33, v31 offset1:13
	v_pack_b32_f16 v28, v28, v35
	v_pack_b32_f16 v31, v34, v32
	v_fma_f16 v26, v26, 2.0, -v45
	v_fma_f16 v62, v62, 2.0, -v30
	ds_write2_b32 v51, v28, v31 offset1:13
	v_pack_b32_f16 v25, v25, v61
	v_pack_b32_f16 v28, v36, v29
	v_sub_f16_e32 v39, v83, v46
	v_sub_f16_e32 v27, v84, v47
	ds_write2_b32 v52, v25, v28 offset1:13
	v_pack_b32_f16 v25, v26, v62
	v_pack_b32_f16 v26, v45, v30
	ds_write2_b32 v53, v25, v26 offset1:13
	s_and_saveexec_b64 s[6:7], s[2:3]
	s_cbranch_execz .LBB0_25
; %bb.24:
	v_fma_f16 v25, v83, 2.0, -v39
	v_fma_f16 v26, v84, 2.0, -v27
	v_mad_legacy_u16 v28, v43, 26, v44
	s_mov_b32 s2, 0x5040100
	v_lshlrev_b32_e32 v28, 2, v28
	v_pack_b32_f16 v25, v25, v26
	v_perm_b32 v26, v27, v39, s2
	ds_write2_b32 v28, v25, v26 offset1:13
.LBB0_25:
	s_or_b64 exec, exec, s[6:7]
	v_add_u32_e32 v28, 0x500, v41
	s_waitcnt lgkmcnt(0)
	s_barrier
	ds_read2_b32 v[28:29], v28 offset0:44 offset1:226
	v_add_u32_e32 v30, 0x1000, v41
	ds_read2_b32 v[30:31], v30 offset0:68 offset1:250
	v_add_u32_e32 v32, 0xb00, v41
	ds_read2_b32 v[32:33], v32 offset0:24 offset1:206
	s_waitcnt lgkmcnt(2)
	v_lshrrev_b32_e32 v35, 16, v29
	v_mul_f16_sdwa v50, v13, v35 dst_sel:DWORD dst_unused:UNUSED_PAD src0_sel:WORD_1 src1_sel:DWORD
	s_waitcnt lgkmcnt(1)
	v_lshrrev_b32_e32 v36, 16, v30
	v_fma_f16 v50, v13, v29, v50
	v_mul_f16_sdwa v29, v13, v29 dst_sel:DWORD dst_unused:UNUSED_PAD src0_sel:WORD_1 src1_sel:DWORD
	v_fma_f16 v13, v13, v35, -v29
	v_mul_f16_sdwa v29, v14, v36 dst_sel:DWORD dst_unused:UNUSED_PAD src0_sel:WORD_1 src1_sel:DWORD
	s_waitcnt lgkmcnt(0)
	v_lshrrev_b32_e32 v45, 16, v32
	v_fma_f16 v29, v14, v30, v29
	v_mul_f16_sdwa v30, v14, v30 dst_sel:DWORD dst_unused:UNUSED_PAD src0_sel:WORD_1 src1_sel:DWORD
	ds_read_b32 v44, v41 offset:5824
	v_fma_f16 v14, v14, v36, -v30
	v_mul_f16_sdwa v30, v11, v45 dst_sel:DWORD dst_unused:UNUSED_PAD src0_sel:WORD_1 src1_sel:DWORD
	v_lshrrev_b32_e32 v46, 16, v31
	v_fma_f16 v30, v11, v32, v30
	v_mul_f16_sdwa v32, v11, v32 dst_sel:DWORD dst_unused:UNUSED_PAD src0_sel:WORD_1 src1_sel:DWORD
	ds_read2_b32 v[25:26], v41 offset1:182
	v_fma_f16 v11, v11, v45, -v32
	v_mul_f16_sdwa v32, v12, v46 dst_sel:DWORD dst_unused:UNUSED_PAD src0_sel:WORD_1 src1_sel:DWORD
	v_lshrrev_b32_e32 v48, 16, v33
	v_fma_f16 v32, v12, v31, v32
	v_mul_f16_sdwa v31, v12, v31 dst_sel:DWORD dst_unused:UNUSED_PAD src0_sel:WORD_1 src1_sel:DWORD
	v_fma_f16 v12, v12, v46, -v31
	v_mul_f16_sdwa v31, v15, v48 dst_sel:DWORD dst_unused:UNUSED_PAD src0_sel:WORD_1 src1_sel:DWORD
	s_waitcnt lgkmcnt(1)
	v_lshrrev_b32_e32 v49, 16, v44
	v_fma_f16 v31, v15, v33, v31
	v_mul_f16_sdwa v33, v15, v33 dst_sel:DWORD dst_unused:UNUSED_PAD src0_sel:WORD_1 src1_sel:DWORD
	v_fma_f16 v15, v15, v48, -v33
	v_mul_f16_sdwa v33, v16, v49 dst_sel:DWORD dst_unused:UNUSED_PAD src0_sel:WORD_1 src1_sel:DWORD
	v_mul_f16_sdwa v35, v16, v44 dst_sel:DWORD dst_unused:UNUSED_PAD src0_sel:WORD_1 src1_sel:DWORD
	v_add_f16_e32 v36, v50, v29
	s_waitcnt lgkmcnt(0)
	v_lshrrev_b32_e32 v34, 16, v25
	v_fma_f16 v33, v16, v44, v33
	v_fma_f16 v16, v16, v49, -v35
	v_add_f16_e32 v35, v25, v50
	v_fma_f16 v25, v36, -0.5, v25
	v_sub_f16_e32 v36, v13, v14
	s_mov_b32 s2, 0xbaee
	s_movk_i32 s3, 0x3aee
	v_fma_f16 v44, v36, s2, v25
	v_fma_f16 v25, v36, s3, v25
	v_add_f16_e32 v36, v34, v13
	v_add_f16_e32 v13, v13, v14
	;; [unrolled: 1-line block ×4, first 2 shown]
	v_fma_f16 v13, v13, -0.5, v34
	v_sub_f16_e32 v14, v50, v29
	v_add_f16_e32 v29, v30, v32
	v_lshrrev_b32_e32 v43, 16, v26
	v_fma_f16 v34, v14, s3, v13
	v_fma_f16 v13, v14, s2, v13
	v_add_f16_e32 v14, v26, v30
	v_fma_f16 v26, v29, -0.5, v26
	v_sub_f16_e32 v29, v11, v12
	v_fma_f16 v45, v29, s2, v26
	v_fma_f16 v26, v29, s3, v26
	v_add_f16_e32 v29, v43, v11
	v_add_f16_e32 v11, v11, v12
	;; [unrolled: 1-line block ×3, first 2 shown]
	v_fma_f16 v11, v11, -0.5, v43
	v_sub_f16_e32 v12, v30, v32
	v_add_f16_e32 v14, v14, v32
	v_fma_f16 v30, v12, s3, v11
	v_fma_f16 v32, v12, s2, v11
	v_add_f16_e32 v11, v28, v31
	v_add_f16_e32 v43, v11, v33
	;; [unrolled: 1-line block ×3, first 2 shown]
	v_lshrrev_b32_e32 v47, 16, v28
	v_fma_f16 v12, v11, -0.5, v28
	v_sub_f16_e32 v28, v15, v16
	v_fma_f16 v11, v28, s2, v12
	v_fma_f16 v12, v28, s3, v12
	v_add_f16_e32 v28, v47, v15
	v_add_f16_e32 v15, v15, v16
	;; [unrolled: 1-line block ×3, first 2 shown]
	v_fma_f16 v15, v15, -0.5, v47
	v_sub_f16_e32 v16, v31, v33
	v_pack_b32_f16 v13, v25, v13
	v_fma_f16 v28, v16, s3, v15
	v_fma_f16 v29, v16, s2, v15
	s_barrier
	v_pack_b32_f16 v15, v35, v36
	v_pack_b32_f16 v16, v44, v34
	ds_write_b32 v54, v13 offset:208
	v_pack_b32_f16 v13, v14, v46
	v_pack_b32_f16 v14, v45, v30
	ds_write2_b32 v54, v15, v16 offset1:26
	ds_write2_b32 v55, v13, v14 offset1:26
	v_pack_b32_f16 v13, v26, v32
	ds_write_b32 v55, v13 offset:208
	v_pack_b32_f16 v13, v43, v48
	v_pack_b32_f16 v14, v11, v28
	ds_write2_b32 v56, v13, v14 offset1:26
	v_pack_b32_f16 v13, v12, v29
	v_add_u32_e32 v15, 0x700, v41
	ds_write_b32 v56, v13 offset:208
	s_waitcnt lgkmcnt(0)
	s_barrier
	ds_read2_b32 v[25:26], v15 offset0:20 offset1:254
	v_add_u32_e32 v15, 0xe80, v41
	ds_read2_b32 v[13:14], v41 offset1:234
	ds_read2_b32 v[15:16], v15 offset0:8 offset1:242
	ds_read_b32 v30, v41 offset:5616
	s_and_saveexec_b64 s[2:3], s[4:5]
	s_cbranch_execz .LBB0_27
; %bb.26:
	v_add_u32_e32 v11, 0x2c0, v41
	v_add_u32_e32 v27, 0xa00, v41
	ds_read2_b32 v[11:12], v11 offset0:6 offset1:240
	v_add_u32_e32 v28, 0x1140, v41
	ds_read2_b32 v[39:40], v27 offset0:10 offset1:244
	ds_read2_b32 v[37:38], v28 offset0:14 offset1:248
	ds_read_b32 v58, v41 offset:6344
	s_waitcnt lgkmcnt(3)
	v_lshrrev_b32_e32 v28, 16, v11
	v_lshrrev_b32_e32 v29, 16, v12
	s_waitcnt lgkmcnt(2)
	v_lshrrev_b32_e32 v27, 16, v39
	v_lshrrev_b32_e32 v77, 16, v40
	;; [unrolled: 3-line block ×3, first 2 shown]
	s_waitcnt lgkmcnt(0)
	v_lshrrev_b32_e32 v59, 16, v58
.LBB0_27:
	s_or_b64 exec, exec, s[2:3]
	s_waitcnt lgkmcnt(2)
	v_lshrrev_b32_e32 v31, 16, v14
	v_mul_f16_sdwa v43, v4, v31 dst_sel:DWORD dst_unused:UNUSED_PAD src0_sel:WORD_1 src1_sel:DWORD
	v_lshrrev_b32_e32 v32, 16, v25
	v_fma_f16 v43, v4, v14, v43
	v_mul_f16_sdwa v14, v4, v14 dst_sel:DWORD dst_unused:UNUSED_PAD src0_sel:WORD_1 src1_sel:DWORD
	v_fma_f16 v4, v4, v31, -v14
	v_mul_f16_sdwa v14, v5, v32 dst_sel:DWORD dst_unused:UNUSED_PAD src0_sel:WORD_1 src1_sel:DWORD
	v_lshrrev_b32_e32 v33, 16, v26
	v_fma_f16 v14, v5, v25, v14
	v_mul_f16_sdwa v25, v5, v25 dst_sel:DWORD dst_unused:UNUSED_PAD src0_sel:WORD_1 src1_sel:DWORD
	v_fma_f16 v5, v5, v32, -v25
	v_mul_f16_sdwa v25, v6, v33 dst_sel:DWORD dst_unused:UNUSED_PAD src0_sel:WORD_1 src1_sel:DWORD
	s_waitcnt lgkmcnt(1)
	v_lshrrev_b32_e32 v34, 16, v15
	v_fma_f16 v25, v6, v26, v25
	v_mul_f16_sdwa v26, v6, v26 dst_sel:DWORD dst_unused:UNUSED_PAD src0_sel:WORD_1 src1_sel:DWORD
	v_fma_f16 v6, v6, v33, -v26
	v_mul_f16_sdwa v26, v7, v34 dst_sel:DWORD dst_unused:UNUSED_PAD src0_sel:WORD_1 src1_sel:DWORD
	v_lshrrev_b32_e32 v35, 16, v16
	v_fma_f16 v26, v7, v15, v26
	v_mul_f16_sdwa v15, v7, v15 dst_sel:DWORD dst_unused:UNUSED_PAD src0_sel:WORD_1 src1_sel:DWORD
	v_fma_f16 v7, v7, v34, -v15
	v_mul_f16_sdwa v15, v17, v35 dst_sel:DWORD dst_unused:UNUSED_PAD src0_sel:WORD_1 src1_sel:DWORD
	s_waitcnt lgkmcnt(0)
	v_lshrrev_b32_e32 v36, 16, v30
	v_fma_f16 v15, v17, v16, v15
	v_mul_f16_sdwa v16, v17, v16 dst_sel:DWORD dst_unused:UNUSED_PAD src0_sel:WORD_1 src1_sel:DWORD
	v_fma_f16 v16, v17, v35, -v16
	v_mul_f16_sdwa v17, v18, v36 dst_sel:DWORD dst_unused:UNUSED_PAD src0_sel:WORD_1 src1_sel:DWORD
	v_fma_f16 v17, v18, v30, v17
	v_mul_f16_sdwa v30, v18, v30 dst_sel:DWORD dst_unused:UNUSED_PAD src0_sel:WORD_1 src1_sel:DWORD
	v_fma_f16 v18, v18, v36, -v30
	v_add_f16_e32 v30, v43, v17
	v_add_f16_e32 v31, v4, v18
	v_sub_f16_e32 v4, v4, v18
	v_add_f16_e32 v18, v14, v15
	v_add_f16_e32 v32, v5, v16
	v_sub_f16_e32 v14, v14, v15
	v_sub_f16_e32 v5, v5, v16
	v_add_f16_e32 v15, v25, v26
	v_add_f16_e32 v16, v6, v7
	v_sub_f16_e32 v25, v26, v25
	;; [unrolled: 4-line block ×3, first 2 shown]
	v_sub_f16_e32 v33, v18, v30
	v_sub_f16_e32 v34, v32, v31
	;; [unrolled: 1-line block ×6, first 2 shown]
	v_add_f16_e32 v35, v25, v14
	v_add_f16_e32 v36, v6, v5
	v_sub_f16_e32 v43, v25, v14
	v_sub_f16_e32 v44, v6, v5
	v_add_f16_e32 v7, v15, v7
	v_add_f16_e32 v15, v16, v26
	v_sub_f16_e32 v25, v17, v25
	v_sub_f16_e32 v6, v4, v6
	;; [unrolled: 1-line block ×4, first 2 shown]
	v_add_f16_e32 v16, v35, v17
	v_add_f16_e32 v4, v36, v4
	;; [unrolled: 1-line block ×3, first 2 shown]
	v_add_f16_sdwa v13, v13, v15 dst_sel:DWORD dst_unused:UNUSED_PAD src0_sel:WORD_1 src1_sel:DWORD
	v_mul_f16_e32 v26, 0x3a52, v30
	v_mul_f16_e32 v30, 0x3a52, v31
	s_movk_i32 s19, 0x2b26
	v_mul_f16_e32 v31, 0x2b26, v18
	v_mul_f16_e32 v35, 0x2b26, v32
	;; [unrolled: 1-line block ×4, first 2 shown]
	s_mov_b32 s20, 0xbcab
	s_movk_i32 s7, 0x39e0
	s_mov_b32 s16, 0xb9e0
	s_mov_b32 s21, 0xb574
	;; [unrolled: 1-line block ×3, first 2 shown]
	v_mul_f16_e32 v44, 0xbb00, v14
	v_mul_f16_e32 v45, 0xbb00, v5
	v_fma_f16 v7, v7, s20, v17
	v_fma_f16 v15, v15, s20, v13
	;; [unrolled: 1-line block ×4, first 2 shown]
	v_fma_f16 v31, v33, s7, -v31
	v_fma_f16 v35, v34, s7, -v35
	;; [unrolled: 1-line block ×4, first 2 shown]
	v_fma_f16 v33, v25, s21, v36
	v_fma_f16 v34, v6, s21, v43
	s_movk_i32 s17, 0x3574
	s_mov_b32 s18, 0xb70e
	v_fma_f16 v14, v14, s6, -v36
	v_fma_f16 v5, v5, s6, -v43
	;; [unrolled: 1-line block ×4, first 2 shown]
	v_add_f16_e32 v18, v18, v7
	v_add_f16_e32 v32, v32, v15
	;; [unrolled: 1-line block ×6, first 2 shown]
	v_fma_f16 v26, v16, s18, v33
	v_fma_f16 v30, v4, s18, v34
	;; [unrolled: 1-line block ×6, first 2 shown]
	v_add_f16_e32 v6, v30, v18
	v_sub_f16_e32 v25, v32, v26
	v_add_f16_e32 v33, v4, v7
	v_sub_f16_e32 v34, v15, v16
	v_sub_f16_e32 v36, v31, v5
	v_add_f16_e32 v43, v14, v35
	v_pack_b32_f16 v13, v17, v13
	v_pack_b32_f16 v6, v6, v25
	v_add_f16_e32 v5, v5, v31
	v_sub_f16_e32 v14, v35, v14
	v_sub_f16_e32 v4, v7, v4
	v_add_f16_e32 v7, v16, v15
	s_barrier
	ds_write2_b32 v60, v13, v6 offset1:78
	v_pack_b32_f16 v6, v33, v34
	v_pack_b32_f16 v13, v36, v43
	v_sub_f16_e32 v15, v18, v30
	v_add_f16_e32 v16, v26, v32
	ds_write2_b32 v60, v6, v13 offset0:156 offset1:234
	v_pack_b32_f16 v5, v5, v14
	v_pack_b32_f16 v4, v4, v7
	v_add_u32_e32 v6, 0x400, v60
	ds_write2_b32 v6, v5, v4 offset0:56 offset1:134
	v_pack_b32_f16 v4, v15, v16
	ds_write_b32 v60, v4 offset:1872
	s_and_saveexec_b64 s[2:3], s[4:5]
	s_cbranch_execz .LBB0_29
; %bb.28:
	v_mul_f16_sdwa v4, v0, v29 dst_sel:DWORD dst_unused:UNUSED_PAD src0_sel:WORD_1 src1_sel:DWORD
	v_fma_f16 v4, v0, v12, v4
	v_mul_f16_sdwa v12, v0, v12 dst_sel:DWORD dst_unused:UNUSED_PAD src0_sel:WORD_1 src1_sel:DWORD
	v_mul_f16_sdwa v13, v2, v77 dst_sel:DWORD dst_unused:UNUSED_PAD src0_sel:WORD_1 src1_sel:DWORD
	v_mul_f16_sdwa v17, v9, v75 dst_sel:DWORD dst_unused:UNUSED_PAD src0_sel:WORD_1 src1_sel:DWORD
	v_fma_f16 v0, v0, v29, -v12
	v_mul_f16_sdwa v29, v2, v40 dst_sel:DWORD dst_unused:UNUSED_PAD src0_sel:WORD_1 src1_sel:DWORD
	v_mul_f16_sdwa v31, v9, v38 dst_sel:DWORD dst_unused:UNUSED_PAD src0_sel:WORD_1 src1_sel:DWORD
	;; [unrolled: 1-line block ×4, first 2 shown]
	v_fma_f16 v13, v2, v40, v13
	v_mul_f16_sdwa v16, v1, v27 dst_sel:DWORD dst_unused:UNUSED_PAD src0_sel:WORD_1 src1_sel:DWORD
	v_fma_f16 v17, v9, v38, v17
	v_mul_f16_sdwa v30, v10, v58 dst_sel:DWORD dst_unused:UNUSED_PAD src0_sel:WORD_1 src1_sel:DWORD
	v_fma_f16 v2, v2, v77, -v29
	v_mul_f16_sdwa v29, v3, v37 dst_sel:DWORD dst_unused:UNUSED_PAD src0_sel:WORD_1 src1_sel:DWORD
	v_fma_f16 v9, v9, v75, -v31
	v_mul_f16_sdwa v31, v1, v39 dst_sel:DWORD dst_unused:UNUSED_PAD src0_sel:WORD_1 src1_sel:DWORD
	v_fma_f16 v5, v10, v58, v5
	v_fma_f16 v7, v3, v37, v7
	;; [unrolled: 1-line block ×3, first 2 shown]
	v_fma_f16 v10, v10, v59, -v30
	v_fma_f16 v3, v3, v76, -v29
	;; [unrolled: 1-line block ×3, first 2 shown]
	v_add_f16_e32 v12, v10, v0
	v_add_f16_e32 v29, v2, v3
	;; [unrolled: 1-line block ×3, first 2 shown]
	v_sub_f16_e32 v0, v0, v10
	v_sub_f16_e32 v2, v3, v2
	;; [unrolled: 1-line block ×6, first 2 shown]
	v_add_f16_e32 v4, v5, v4
	v_add_f16_e32 v5, v13, v7
	;; [unrolled: 1-line block ×3, first 2 shown]
	v_sub_f16_e32 v3, v0, v2
	v_sub_f16_e32 v9, v2, v1
	v_add_f16_e32 v2, v2, v1
	v_sub_f16_e32 v15, v6, v14
	v_sub_f16_e32 v25, v14, v18
	v_add_f16_e32 v14, v14, v18
	v_add_f16_e32 v33, v27, v12
	;; [unrolled: 1-line block ×4, first 2 shown]
	v_sub_f16_e32 v0, v1, v0
	v_add_f16_e32 v14, v14, v6
	v_sub_f16_e32 v30, v12, v29
	v_sub_f16_e32 v31, v29, v27
	v_add_f16_e32 v29, v29, v33
	v_sub_f16_e32 v7, v4, v5
	v_sub_f16_e32 v16, v5, v13
	v_add_f16_e32 v5, v5, v34
	v_mul_f16_e32 v9, 0x3846, v9
	v_sub_f16_e32 v6, v18, v6
	v_mul_f16_e32 v1, 0xbb00, v0
	v_mul_f16_e32 v25, 0x3846, v25
	;; [unrolled: 1-line block ×4, first 2 shown]
	v_add_f16_e32 v28, v28, v29
	v_mul_f16_e32 v7, 0x3a52, v7
	v_mul_f16_e32 v17, 0x2b26, v16
	v_add_f16_e32 v11, v11, v5
	v_fma_f16 v10, v3, s21, v9
	v_mul_f16_e32 v18, 0xbb00, v6
	v_sub_f16_e32 v12, v27, v12
	v_sub_f16_e32 v4, v13, v4
	v_fma_f16 v1, v3, s17, -v1
	v_fma_f16 v0, v0, s6, -v9
	v_fma_f16 v26, v15, s21, v25
	v_fma_f16 v29, v29, s20, v28
	;; [unrolled: 1-line block ×5, first 2 shown]
	v_fma_f16 v15, v15, s17, -v18
	v_fma_f16 v18, v12, s16, -v30
	;; [unrolled: 1-line block ×3, first 2 shown]
	v_fma_f16 v1, v2, s18, v1
	v_fma_f16 v12, v12, s7, -v32
	v_fma_f16 v6, v6, s6, -v25
	v_fma_f16 v0, v2, s18, v0
	v_fma_f16 v2, v4, s7, -v17
	v_fma_f16 v15, v14, s18, v15
	v_add_f16_e32 v18, v18, v29
	v_add_f16_e32 v7, v7, v5
	;; [unrolled: 1-line block ×3, first 2 shown]
	v_fma_f16 v6, v14, s18, v6
	v_add_f16_e32 v2, v2, v5
	v_fma_f16 v31, v31, s19, v30
	v_add_f16_e32 v16, v16, v5
	v_sub_f16_e32 v3, v7, v1
	v_add_f16_e32 v4, v0, v2
	v_add_f16_e32 v5, v6, v12
	v_sub_f16_e32 v0, v2, v0
	v_sub_f16_e32 v2, v18, v15
	v_add_f16_e32 v1, v1, v7
	v_fma_f16 v26, v14, s18, v26
	v_add_f16_e32 v31, v31, v29
	v_add_f16_e32 v27, v15, v18
	v_sub_f16_e32 v13, v12, v6
	v_pack_b32_f16 v1, v1, v2
	v_pack_b32_f16 v0, v0, v5
	v_add_u32_e32 v2, 0x1200, v57
	v_add_f16_e32 v33, v26, v31
	v_sub_f16_e32 v34, v16, v10
	v_sub_f16_e32 v6, v31, v26
	v_add_f16_e32 v7, v10, v16
	ds_write2_b32 v2, v1, v0 offset0:96 offset1:174
	v_pack_b32_f16 v0, v4, v13
	v_pack_b32_f16 v1, v3, v27
	v_add_u32_e32 v2, 0x1400, v57
	v_pack_b32_f16 v9, v11, v28
	v_pack_b32_f16 v6, v7, v6
	v_add_u32_e32 v7, 0x1000, v57
	ds_write2_b32 v2, v0, v1 offset0:124 offset1:202
	v_pack_b32_f16 v0, v34, v33
	ds_write2_b32 v7, v9, v6 offset0:68 offset1:146
	ds_write_b32 v57, v0 offset:6240
.LBB0_29:
	s_or_b64 exec, exec, s[2:3]
	v_add_u32_e32 v6, 0x500, v41
	s_waitcnt lgkmcnt(0)
	s_barrier
	ds_read2_b32 v[2:3], v6 offset0:44 offset1:226
	v_add_u32_e32 v7, 0x1000, v41
	ds_read2_b32 v[4:5], v7 offset0:68 offset1:250
	v_add_u32_e32 v13, 0xb00, v41
	ds_read2_b32 v[9:10], v13 offset0:24 offset1:206
	s_waitcnt lgkmcnt(2)
	v_lshrrev_b32_e32 v12, 16, v3
	v_mul_f16_sdwa v28, v19, v12 dst_sel:DWORD dst_unused:UNUSED_PAD src0_sel:WORD_1 src1_sel:DWORD
	s_waitcnt lgkmcnt(1)
	v_lshrrev_b32_e32 v14, 16, v4
	v_fma_f16 v28, v19, v3, v28
	v_mul_f16_sdwa v3, v19, v3 dst_sel:DWORD dst_unused:UNUSED_PAD src0_sel:WORD_1 src1_sel:DWORD
	ds_read2_b32 v[0:1], v41 offset1:182
	v_fma_f16 v3, v19, v12, -v3
	v_mul_f16_sdwa v12, v20, v14 dst_sel:DWORD dst_unused:UNUSED_PAD src0_sel:WORD_1 src1_sel:DWORD
	s_waitcnt lgkmcnt(1)
	v_lshrrev_b32_e32 v17, 16, v9
	v_fma_f16 v12, v20, v4, v12
	v_mul_f16_sdwa v4, v20, v4 dst_sel:DWORD dst_unused:UNUSED_PAD src0_sel:WORD_1 src1_sel:DWORD
	v_fma_f16 v4, v20, v14, -v4
	v_mul_f16_sdwa v14, v21, v17 dst_sel:DWORD dst_unused:UNUSED_PAD src0_sel:WORD_1 src1_sel:DWORD
	ds_read_b32 v16, v41 offset:5824
	v_lshrrev_b32_e32 v18, 16, v5
	v_fma_f16 v14, v21, v9, v14
	v_mul_f16_sdwa v9, v21, v9 dst_sel:DWORD dst_unused:UNUSED_PAD src0_sel:WORD_1 src1_sel:DWORD
	v_fma_f16 v9, v21, v17, -v9
	v_mul_f16_sdwa v17, v22, v18 dst_sel:DWORD dst_unused:UNUSED_PAD src0_sel:WORD_1 src1_sel:DWORD
	v_add_f16_e32 v21, v28, v12
	s_waitcnt lgkmcnt(1)
	v_lshrrev_b32_e32 v11, 16, v0
	v_fma_f16 v17, v22, v5, v17
	v_mul_f16_sdwa v5, v22, v5 dst_sel:DWORD dst_unused:UNUSED_PAD src0_sel:WORD_1 src1_sel:DWORD
	v_add_f16_e32 v20, v0, v28
	v_fma_f16 v0, v21, -0.5, v0
	v_sub_f16_e32 v21, v3, v4
	s_mov_b32 s2, 0xbaee
	s_movk_i32 s3, 0x3aee
	v_lshrrev_b32_e32 v26, 16, v10
	v_fma_f16 v5, v22, v18, -v5
	v_fma_f16 v22, v21, s2, v0
	v_fma_f16 v0, v21, s3, v0
	v_add_f16_e32 v21, v11, v3
	v_add_f16_e32 v3, v3, v4
	v_mul_f16_sdwa v18, v23, v26 dst_sel:DWORD dst_unused:UNUSED_PAD src0_sel:WORD_1 src1_sel:DWORD
	v_add_f16_e32 v20, v20, v12
	v_add_f16_e32 v21, v21, v4
	v_fma_f16 v3, v3, -0.5, v11
	v_sub_f16_e32 v4, v28, v12
	v_add_f16_e32 v12, v14, v17
	v_lshrrev_b32_e32 v15, 16, v1
	s_waitcnt lgkmcnt(0)
	v_lshrrev_b32_e32 v27, 16, v16
	v_fma_f16 v18, v23, v10, v18
	v_mul_f16_sdwa v10, v23, v10 dst_sel:DWORD dst_unused:UNUSED_PAD src0_sel:WORD_1 src1_sel:DWORD
	v_fma_f16 v11, v4, s3, v3
	v_fma_f16 v3, v4, s2, v3
	v_add_f16_e32 v4, v1, v14
	v_fma_f16 v1, v12, -0.5, v1
	v_sub_f16_e32 v12, v9, v5
	v_fma_f16 v10, v23, v26, -v10
	v_mul_f16_sdwa v19, v24, v27 dst_sel:DWORD dst_unused:UNUSED_PAD src0_sel:WORD_1 src1_sel:DWORD
	v_fma_f16 v23, v12, s2, v1
	v_fma_f16 v1, v12, s3, v1
	v_add_f16_e32 v12, v15, v9
	v_fma_f16 v19, v24, v16, v19
	v_mul_f16_sdwa v16, v24, v16 dst_sel:DWORD dst_unused:UNUSED_PAD src0_sel:WORD_1 src1_sel:DWORD
	v_add_f16_e32 v12, v12, v5
	v_add_f16_e32 v5, v9, v5
	v_fma_f16 v16, v24, v27, -v16
	v_fma_f16 v5, v5, -0.5, v15
	v_sub_f16_e32 v9, v14, v17
	v_add_f16_e32 v15, v18, v19
	v_lshrrev_b32_e32 v25, 16, v2
	v_fma_f16 v14, v9, s3, v5
	v_fma_f16 v5, v9, s2, v5
	v_add_f16_e32 v9, v2, v18
	v_fma_f16 v2, v15, -0.5, v2
	v_sub_f16_e32 v15, v10, v16
	v_add_f16_e32 v4, v4, v17
	v_fma_f16 v17, v15, s2, v2
	v_fma_f16 v2, v15, s3, v2
	v_add_f16_e32 v15, v25, v10
	v_add_f16_e32 v10, v10, v16
	v_add_f16_e32 v9, v9, v19
	v_add_f16_e32 v15, v15, v16
	v_fma_f16 v10, v10, -0.5, v25
	v_sub_f16_e32 v16, v18, v19
	v_pack_b32_f16 v0, v0, v3
	v_pack_b32_f16 v1, v1, v5
	v_fma_f16 v18, v16, s3, v10
	v_fma_f16 v10, v16, s2, v10
	v_pack_b32_f16 v16, v20, v21
	v_pack_b32_f16 v11, v22, v11
	;; [unrolled: 1-line block ×3, first 2 shown]
	ds_write2_b32 v7, v0, v1 offset0:68 offset1:250
	v_pack_b32_f16 v0, v9, v15
	ds_write2_b32 v41, v16, v3 offset1:182
	v_pack_b32_f16 v3, v23, v14
	ds_write2_b32 v6, v0, v11 offset0:44 offset1:226
	v_pack_b32_f16 v0, v17, v18
	s_movk_i32 s19, 0x1000
	ds_write2_b32 v13, v3, v0 offset0:24 offset1:206
	v_pack_b32_f16 v0, v2, v10
	ds_write_b32 v41, v0 offset:5824
	s_waitcnt lgkmcnt(0)
	s_barrier
	s_and_b64 exec, exec, s[0:1]
	s_cbranch_execz .LBB0_31
; %bb.30:
	global_load_dword v13, v41, s[12:13]
	global_load_dword v12, v41, s[12:13] offset:504
	ds_read_b32 v18, v41
	v_mad_u64_u32 v[2:3], s[0:1], s10, v8, 0
	v_mad_u64_u32 v[4:5], s[0:1], s8, v42, 0
	s_waitcnt lgkmcnt(0)
	v_lshrrev_b32_e32 v19, 16, v18
	s_mov_b32 s6, 0x14014014
	s_mov_b32 s7, 0x3f440140
	v_mov_b32_e32 v10, s13
	s_movk_i32 s18, 0x1ff
	v_add_co_u32_e32 v9, vcc, s12, v41
	v_addc_co_u32_e32 v10, vcc, 0, v10, vcc
	v_mov_b32_e32 v6, 0x7c00
	s_movk_i32 s17, 0xffe
	v_mad_u64_u32 v[23:24], s[0:1], s9, v42, v[5:6]
	ds_read2_b32 v[0:1], v41 offset0:126 offset1:252
	global_load_dword v14, v41, s[12:13] offset:1008
	global_load_dword v15, v41, s[12:13] offset:1512
	;; [unrolled: 1-line block ×5, first 2 shown]
	s_movk_i32 s16, 0x40f
	s_mov_b32 s10, 0x8000
	s_waitcnt vmcnt(6)
	v_mul_f16_sdwa v20, v19, v13 dst_sel:DWORD dst_unused:UNUSED_PAD src0_sel:DWORD src1_sel:WORD_1
	v_fma_f16 v20, v18, v13, v20
	v_mul_f16_sdwa v18, v18, v13 dst_sel:DWORD dst_unused:UNUSED_PAD src0_sel:DWORD src1_sel:WORD_1
	v_cvt_f32_f16_e32 v20, v20
	v_fma_f16 v13, v13, v19, -v18
	v_cvt_f32_f16_e32 v13, v13
	v_cvt_f64_f32_e32 v[18:19], v20
	v_mad_u64_u32 v[20:21], s[0:1], s11, v8, v[3:4]
	v_cvt_f64_f32_e32 v[21:22], v13
	v_mul_f64 v[18:19], v[18:19], s[6:7]
	v_mov_b32_e32 v3, v20
	s_waitcnt lgkmcnt(0)
	v_lshrrev_b32_e32 v8, 16, v0
	v_mul_f64 v[21:22], v[21:22], s[6:7]
	s_waitcnt vmcnt(5)
	v_mul_f16_sdwa v5, v8, v12 dst_sel:DWORD dst_unused:UNUSED_PAD src0_sel:DWORD src1_sel:WORD_1
	v_fma_f16 v5, v0, v12, v5
	v_lshlrev_b64 v[2:3], 2, v[2:3]
	v_mul_f16_sdwa v0, v0, v12 dst_sel:DWORD dst_unused:UNUSED_PAD src0_sel:DWORD src1_sel:WORD_1
	v_and_or_b32 v13, v19, s18, v18
	v_cmp_ne_u32_e32 vcc, 0, v13
	v_lshrrev_b32_e32 v18, 8, v19
	v_and_or_b32 v21, v22, s18, v21
	v_bfe_u32 v20, v19, 20, 11
	v_cndmask_b32_e64 v13, 0, 1, vcc
	v_cmp_ne_u32_e32 vcc, 0, v21
	v_lshrrev_b32_e32 v24, 8, v22
	v_bfe_u32 v25, v22, 20, 11
	v_sub_u32_e32 v26, 0x3f1, v20
	v_cndmask_b32_e64 v21, 0, 1, vcc
	v_and_or_b32 v13, v18, s17, v13
	v_sub_u32_e32 v27, 0x3f1, v25
	v_med3_i32 v18, v26, 0, 13
	v_and_or_b32 v21, v24, s17, v21
	v_or_b32_e32 v26, 0x1000, v13
	v_add_u32_e32 v20, 0xfffffc10, v20
	v_med3_i32 v24, v27, 0, 13
	v_cmp_ne_u32_e32 vcc, 0, v13
	v_or_b32_e32 v28, 0x1000, v21
	v_lshrrev_b32_e32 v30, v18, v26
	v_add_u32_e32 v25, 0xfffffc10, v25
	v_lshl_or_b32 v27, v20, 12, v13
	v_cndmask_b32_e64 v13, 0, 1, vcc
	v_cmp_ne_u32_e32 vcc, 0, v21
	v_lshrrev_b32_e32 v31, v24, v28
	v_lshlrev_b32_e32 v18, v18, v30
	v_lshl_or_b32 v29, v25, 12, v21
	v_cndmask_b32_e64 v21, 0, 1, vcc
	v_lshlrev_b32_e32 v24, v24, v31
	v_cmp_ne_u32_e32 vcc, v18, v26
	v_cndmask_b32_e64 v18, 0, 1, vcc
	v_cmp_ne_u32_e32 vcc, v24, v28
	v_cndmask_b32_e64 v24, 0, 1, vcc
	v_or_b32_e32 v18, v30, v18
	v_cmp_gt_i32_e32 vcc, 1, v20
	v_cndmask_b32_e32 v18, v27, v18, vcc
	v_or_b32_e32 v24, v31, v24
	v_cmp_gt_i32_e32 vcc, 1, v25
	v_and_b32_e32 v26, 7, v18
	v_cndmask_b32_e32 v24, v29, v24, vcc
	v_cmp_lt_i32_e32 vcc, 5, v26
	v_cmp_eq_u32_e64 s[0:1], 3, v26
	v_lshrrev_b32_e32 v18, 2, v18
	v_and_b32_e32 v27, 7, v24
	s_or_b64 vcc, s[0:1], vcc
	v_cmp_lt_i32_e64 s[2:3], 5, v27
	v_cmp_eq_u32_e64 s[4:5], 3, v27
	v_addc_co_u32_e32 v18, vcc, 0, v18, vcc
	v_lshrrev_b32_e32 v24, 2, v24
	s_or_b64 vcc, s[4:5], s[2:3]
	v_addc_co_u32_e32 v24, vcc, 0, v24, vcc
	v_cmp_gt_i32_e32 vcc, 31, v20
	v_cndmask_b32_e32 v18, v6, v18, vcc
	v_cmp_gt_i32_e32 vcc, 31, v25
	v_lshl_or_b32 v13, v13, 9, v6
	v_cndmask_b32_e32 v24, v6, v24, vcc
	v_cmp_eq_u32_e32 vcc, s16, v20
	v_lshrrev_b32_e32 v19, 16, v19
	v_cndmask_b32_e32 v13, v18, v13, vcc
	v_and_or_b32 v13, v19, s10, v13
	v_cvt_f32_f16_e32 v19, v5
	v_lshl_or_b32 v21, v21, 9, v6
	v_cmp_eq_u32_e32 vcc, s16, v25
	v_lshrrev_b32_e32 v22, 16, v22
	v_cndmask_b32_e32 v18, v24, v21, vcc
	v_and_or_b32 v20, v22, s10, v18
	v_cvt_f64_f32_e32 v[18:19], v19
	v_and_b32_e32 v13, 0xffff, v13
	v_mov_b32_e32 v5, v23
	v_lshl_or_b32 v13, v20, 16, v13
	v_mul_f64 v[18:19], v[18:19], s[6:7]
	v_mov_b32_e32 v20, s15
	v_add_co_u32_e32 v21, vcc, s14, v2
	v_addc_co_u32_e32 v20, vcc, v20, v3, vcc
	v_lshlrev_b64 v[2:3], 2, v[4:5]
	v_fma_f16 v0, v12, v8, -v0
	v_add_co_u32_e32 v2, vcc, v21, v2
	v_addc_co_u32_e32 v3, vcc, v20, v3, vcc
	v_and_or_b32 v4, v19, s18, v18
	v_cmp_ne_u32_e32 vcc, 0, v4
	v_cndmask_b32_e64 v4, 0, 1, vcc
	v_lshrrev_b32_e32 v5, 8, v19
	global_store_dword v[2:3], v13, off
	v_and_or_b32 v13, v5, s17, v4
	v_bfe_u32 v5, v19, 20, 11
	v_sub_u32_e32 v18, 0x3f1, v5
	v_or_b32_e32 v4, 0x1000, v13
	v_med3_i32 v18, v18, 0, 13
	v_lshrrev_b32_e32 v20, v18, v4
	v_lshlrev_b32_e32 v18, v18, v20
	v_cmp_ne_u32_e32 vcc, v18, v4
	v_cndmask_b32_e64 v4, 0, 1, vcc
	v_add_u32_e32 v18, 0xfffffc10, v5
	v_cvt_f32_f16_e32 v0, v0
	v_or_b32_e32 v4, v20, v4
	v_lshl_or_b32 v5, v18, 12, v13
	v_cmp_gt_i32_e32 vcc, 1, v18
	v_cndmask_b32_e32 v4, v5, v4, vcc
	v_and_b32_e32 v5, 7, v4
	v_cmp_lt_i32_e32 vcc, 5, v5
	v_cmp_eq_u32_e64 s[0:1], 3, v5
	v_lshrrev_b32_e32 v8, 2, v4
	v_cvt_f64_f32_e32 v[4:5], v0
	s_or_b64 vcc, s[0:1], vcc
	v_addc_co_u32_e32 v0, vcc, 0, v8, vcc
	v_mul_f64 v[4:5], v[4:5], s[6:7]
	v_cmp_gt_i32_e32 vcc, 31, v18
	v_cndmask_b32_e32 v0, v6, v0, vcc
	v_cmp_ne_u32_e32 vcc, 0, v13
	v_cndmask_b32_e64 v8, 0, 1, vcc
	v_lshl_or_b32 v8, v8, 9, v6
	v_cmp_eq_u32_e32 vcc, s16, v18
	v_cndmask_b32_e32 v0, v0, v8, vcc
	v_and_or_b32 v4, v5, s18, v4
	v_lshrrev_b32_e32 v8, 16, v19
	v_cmp_ne_u32_e32 vcc, 0, v4
	v_and_or_b32 v0, v8, s10, v0
	v_cndmask_b32_e64 v4, 0, 1, vcc
	v_lshrrev_b32_e32 v8, 8, v5
	v_bfe_u32 v12, v5, 20, 11
	v_and_or_b32 v4, v8, s17, v4
	v_sub_u32_e32 v13, 0x3f1, v12
	v_or_b32_e32 v8, 0x1000, v4
	v_med3_i32 v13, v13, 0, 13
	v_lshrrev_b32_e32 v18, v13, v8
	v_lshlrev_b32_e32 v13, v13, v18
	v_cmp_ne_u32_e32 vcc, v13, v8
	v_cndmask_b32_e64 v8, 0, 1, vcc
	v_add_u32_e32 v12, 0xfffffc10, v12
	v_or_b32_e32 v8, v18, v8
	v_lshl_or_b32 v13, v12, 12, v4
	v_cmp_gt_i32_e32 vcc, 1, v12
	v_cndmask_b32_e32 v8, v13, v8, vcc
	v_and_b32_e32 v13, 7, v8
	v_cmp_lt_i32_e32 vcc, 5, v13
	v_cmp_eq_u32_e64 s[0:1], 3, v13
	v_lshrrev_b32_e32 v8, 2, v8
	s_or_b64 vcc, s[0:1], vcc
	v_addc_co_u32_e32 v8, vcc, 0, v8, vcc
	v_cmp_gt_i32_e32 vcc, 31, v12
	v_cndmask_b32_e32 v8, v6, v8, vcc
	v_cmp_ne_u32_e32 vcc, 0, v4
	v_cndmask_b32_e64 v4, 0, 1, vcc
	v_lshl_or_b32 v4, v4, 9, v6
	v_cmp_eq_u32_e32 vcc, s16, v12
	v_cndmask_b32_e32 v4, v8, v4, vcc
	v_lshrrev_b32_e32 v8, 16, v1
	s_waitcnt vmcnt(5)
	v_mul_f16_sdwa v12, v8, v14 dst_sel:DWORD dst_unused:UNUSED_PAD src0_sel:DWORD src1_sel:WORD_1
	v_fma_f16 v12, v1, v14, v12
	v_cvt_f32_f16_e32 v12, v12
	v_lshrrev_b32_e32 v5, 16, v5
	v_and_or_b32 v4, v5, s10, v4
	v_and_b32_e32 v0, 0xffff, v0
	v_lshl_or_b32 v0, v4, 16, v0
	v_cvt_f64_f32_e32 v[4:5], v12
	s_mul_i32 s0, s9, 0x1f8
	s_mul_hi_u32 s2, s8, 0x1f8
	s_add_i32 s2, s2, s0
	v_mul_f64 v[4:5], v[4:5], s[6:7]
	s_mul_i32 s3, s8, 0x1f8
	v_mov_b32_e32 v12, s2
	v_add_co_u32_e32 v2, vcc, s3, v2
	v_addc_co_u32_e32 v3, vcc, v3, v12, vcc
	global_store_dword v[2:3], v0, off
	v_and_or_b32 v0, v5, s18, v4
	v_cmp_ne_u32_e32 vcc, 0, v0
	v_cndmask_b32_e64 v0, 0, 1, vcc
	v_lshrrev_b32_e32 v4, 8, v5
	v_bfe_u32 v12, v5, 20, 11
	v_and_or_b32 v4, v4, s17, v0
	v_sub_u32_e32 v13, 0x3f1, v12
	v_or_b32_e32 v0, 0x1000, v4
	v_med3_i32 v13, v13, 0, 13
	v_lshrrev_b32_e32 v18, v13, v0
	v_mul_f16_sdwa v1, v1, v14 dst_sel:DWORD dst_unused:UNUSED_PAD src0_sel:DWORD src1_sel:WORD_1
	v_lshlrev_b32_e32 v13, v13, v18
	v_fma_f16 v1, v14, v8, -v1
	v_cmp_ne_u32_e32 vcc, v13, v0
	v_cvt_f32_f16_e32 v1, v1
	v_cndmask_b32_e64 v0, 0, 1, vcc
	v_add_u32_e32 v12, 0xfffffc10, v12
	v_or_b32_e32 v0, v18, v0
	v_lshl_or_b32 v13, v12, 12, v4
	v_cmp_gt_i32_e32 vcc, 1, v12
	v_cndmask_b32_e32 v0, v13, v0, vcc
	v_and_b32_e32 v13, 7, v0
	v_lshrrev_b32_e32 v8, 2, v0
	v_cvt_f64_f32_e32 v[0:1], v1
	v_cmp_lt_i32_e32 vcc, 5, v13
	v_cmp_eq_u32_e64 s[0:1], 3, v13
	s_or_b64 vcc, s[0:1], vcc
	v_mul_f64 v[0:1], v[0:1], s[6:7]
	v_addc_co_u32_e32 v8, vcc, 0, v8, vcc
	v_cmp_gt_i32_e32 vcc, 31, v12
	v_cndmask_b32_e32 v8, v6, v8, vcc
	v_cmp_ne_u32_e32 vcc, 0, v4
	v_cndmask_b32_e64 v4, 0, 1, vcc
	v_lshl_or_b32 v4, v4, 9, v6
	v_cmp_eq_u32_e32 vcc, s16, v12
	v_and_or_b32 v0, v1, s18, v0
	v_cndmask_b32_e32 v4, v8, v4, vcc
	v_lshrrev_b32_e32 v5, 16, v5
	v_cmp_ne_u32_e32 vcc, 0, v0
	v_and_or_b32 v8, v5, s10, v4
	v_cndmask_b32_e64 v0, 0, 1, vcc
	v_lshrrev_b32_e32 v4, 8, v1
	v_bfe_u32 v5, v1, 20, 11
	v_and_or_b32 v0, v4, s17, v0
	v_sub_u32_e32 v12, 0x3f1, v5
	v_or_b32_e32 v4, 0x1000, v0
	v_med3_i32 v12, v12, 0, 13
	v_lshrrev_b32_e32 v13, v12, v4
	v_lshlrev_b32_e32 v12, v12, v13
	v_cmp_ne_u32_e32 vcc, v12, v4
	v_cndmask_b32_e64 v4, 0, 1, vcc
	v_add_u32_e32 v12, 0xfffffc10, v5
	v_or_b32_e32 v4, v13, v4
	v_lshl_or_b32 v5, v12, 12, v0
	v_cmp_gt_i32_e32 vcc, 1, v12
	v_cndmask_b32_e32 v4, v5, v4, vcc
	v_and_b32_e32 v5, 7, v4
	v_cmp_lt_i32_e32 vcc, 5, v5
	v_cmp_eq_u32_e64 s[0:1], 3, v5
	v_lshrrev_b32_e32 v4, 2, v4
	s_or_b64 vcc, s[0:1], vcc
	v_addc_co_u32_e32 v13, vcc, 0, v4, vcc
	v_add_u32_e32 v4, 0x400, v41
	ds_read2_b32 v[4:5], v4 offset0:122 offset1:248
	v_cmp_gt_i32_e32 vcc, 31, v12
	v_cndmask_b32_e32 v13, v6, v13, vcc
	v_cmp_ne_u32_e32 vcc, 0, v0
	v_cndmask_b32_e64 v0, 0, 1, vcc
	s_waitcnt lgkmcnt(0)
	v_lshrrev_b32_e32 v14, 16, v4
	s_waitcnt vmcnt(5)
	v_mul_f16_sdwa v18, v14, v15 dst_sel:DWORD dst_unused:UNUSED_PAD src0_sel:DWORD src1_sel:WORD_1
	v_fma_f16 v18, v4, v15, v18
	v_cvt_f32_f16_e32 v18, v18
	v_lshl_or_b32 v0, v0, 9, v6
	v_cmp_eq_u32_e32 vcc, s16, v12
	v_cndmask_b32_e32 v0, v13, v0, vcc
	v_cvt_f64_f32_e32 v[12:13], v18
	v_lshrrev_b32_e32 v1, 16, v1
	v_and_or_b32 v18, v1, s10, v0
	v_add_co_u32_e32 v2, vcc, s3, v2
	v_mul_f64 v[0:1], v[12:13], s[6:7]
	v_mov_b32_e32 v12, s2
	v_and_b32_e32 v8, 0xffff, v8
	v_addc_co_u32_e32 v3, vcc, v3, v12, vcc
	v_lshl_or_b32 v8, v18, 16, v8
	global_store_dword v[2:3], v8, off
	v_mul_f16_sdwa v4, v4, v15 dst_sel:DWORD dst_unused:UNUSED_PAD src0_sel:DWORD src1_sel:WORD_1
	v_and_or_b32 v0, v1, s18, v0
	v_cmp_ne_u32_e32 vcc, 0, v0
	v_cndmask_b32_e64 v0, 0, 1, vcc
	v_lshrrev_b32_e32 v8, 8, v1
	v_bfe_u32 v12, v1, 20, 11
	v_and_or_b32 v0, v8, s17, v0
	v_sub_u32_e32 v13, 0x3f1, v12
	v_or_b32_e32 v8, 0x1000, v0
	v_med3_i32 v13, v13, 0, 13
	v_lshrrev_b32_e32 v18, v13, v8
	v_lshlrev_b32_e32 v13, v13, v18
	v_cmp_ne_u32_e32 vcc, v13, v8
	v_cndmask_b32_e64 v8, 0, 1, vcc
	v_fma_f16 v4, v15, v14, -v4
	v_or_b32_e32 v8, v18, v8
	v_add_u32_e32 v18, 0xfffffc10, v12
	v_cvt_f32_f16_e32 v4, v4
	v_lshl_or_b32 v12, v18, 12, v0
	v_cmp_gt_i32_e32 vcc, 1, v18
	v_cndmask_b32_e32 v8, v12, v8, vcc
	v_and_b32_e32 v12, 7, v8
	v_cmp_lt_i32_e32 vcc, 5, v12
	v_cmp_eq_u32_e64 s[0:1], 3, v12
	v_cvt_f64_f32_e32 v[12:13], v4
	v_lshrrev_b32_e32 v8, 2, v8
	s_or_b64 vcc, s[0:1], vcc
	v_addc_co_u32_e32 v4, vcc, 0, v8, vcc
	v_mul_f64 v[12:13], v[12:13], s[6:7]
	v_cmp_gt_i32_e32 vcc, 31, v18
	v_cndmask_b32_e32 v4, v6, v4, vcc
	v_cmp_ne_u32_e32 vcc, 0, v0
	v_cndmask_b32_e64 v0, 0, 1, vcc
	v_lshl_or_b32 v0, v0, 9, v6
	v_cmp_eq_u32_e32 vcc, s16, v18
	v_cndmask_b32_e32 v0, v4, v0, vcc
	v_lshrrev_b32_e32 v1, 16, v1
	v_and_or_b32 v4, v1, s10, v0
	v_and_or_b32 v0, v13, s18, v12
	v_cmp_ne_u32_e32 vcc, 0, v0
	v_cndmask_b32_e64 v0, 0, 1, vcc
	v_lshrrev_b32_e32 v1, 8, v13
	v_bfe_u32 v8, v13, 20, 11
	v_and_or_b32 v0, v1, s17, v0
	v_sub_u32_e32 v12, 0x3f1, v8
	v_or_b32_e32 v1, 0x1000, v0
	v_med3_i32 v12, v12, 0, 13
	v_lshrrev_b32_e32 v14, v12, v1
	v_lshlrev_b32_e32 v12, v12, v14
	v_cmp_ne_u32_e32 vcc, v12, v1
	v_cndmask_b32_e64 v1, 0, 1, vcc
	v_add_u32_e32 v8, 0xfffffc10, v8
	v_or_b32_e32 v1, v14, v1
	v_lshl_or_b32 v12, v8, 12, v0
	v_cmp_gt_i32_e32 vcc, 1, v8
	v_cndmask_b32_e32 v1, v12, v1, vcc
	v_and_b32_e32 v12, 7, v1
	v_cmp_lt_i32_e32 vcc, 5, v12
	v_cmp_eq_u32_e64 s[0:1], 3, v12
	v_lshrrev_b32_e32 v12, 16, v5
	v_lshrrev_b32_e32 v1, 2, v1
	s_or_b64 vcc, s[0:1], vcc
	s_waitcnt vmcnt(5)
	v_mul_f16_sdwa v14, v12, v16 dst_sel:DWORD dst_unused:UNUSED_PAD src0_sel:DWORD src1_sel:WORD_1
	v_addc_co_u32_e32 v1, vcc, 0, v1, vcc
	v_fma_f16 v14, v5, v16, v14
	v_cmp_gt_i32_e32 vcc, 31, v8
	v_cvt_f32_f16_e32 v14, v14
	v_cndmask_b32_e32 v1, v6, v1, vcc
	v_cmp_ne_u32_e32 vcc, 0, v0
	v_cndmask_b32_e64 v0, 0, 1, vcc
	v_lshl_or_b32 v0, v0, 9, v6
	v_cmp_eq_u32_e32 vcc, s16, v8
	v_cndmask_b32_e32 v8, v1, v0, vcc
	v_cvt_f64_f32_e32 v[0:1], v14
	v_lshrrev_b32_e32 v13, 16, v13
	v_and_or_b32 v8, v13, s10, v8
	v_and_b32_e32 v4, 0xffff, v4
	v_mul_f64 v[0:1], v[0:1], s[6:7]
	v_lshl_or_b32 v4, v8, 16, v4
	v_mov_b32_e32 v8, s2
	v_add_co_u32_e32 v2, vcc, s3, v2
	v_addc_co_u32_e32 v3, vcc, v3, v8, vcc
	global_store_dword v[2:3], v4, off
	v_and_or_b32 v0, v1, s18, v0
	v_cmp_ne_u32_e32 vcc, 0, v0
	v_cndmask_b32_e64 v0, 0, 1, vcc
	v_lshrrev_b32_e32 v4, 8, v1
	v_bfe_u32 v8, v1, 20, 11
	v_and_or_b32 v0, v4, s17, v0
	v_sub_u32_e32 v13, 0x3f1, v8
	v_or_b32_e32 v4, 0x1000, v0
	v_med3_i32 v13, v13, 0, 13
	v_lshrrev_b32_e32 v14, v13, v4
	v_mul_f16_sdwa v5, v5, v16 dst_sel:DWORD dst_unused:UNUSED_PAD src0_sel:DWORD src1_sel:WORD_1
	v_lshlrev_b32_e32 v13, v13, v14
	v_fma_f16 v5, v16, v12, -v5
	v_cmp_ne_u32_e32 vcc, v13, v4
	v_cvt_f32_f16_e32 v5, v5
	v_cndmask_b32_e64 v4, 0, 1, vcc
	v_add_u32_e32 v8, 0xfffffc10, v8
	v_or_b32_e32 v4, v14, v4
	v_lshl_or_b32 v13, v8, 12, v0
	v_cmp_gt_i32_e32 vcc, 1, v8
	v_cndmask_b32_e32 v4, v13, v4, vcc
	v_and_b32_e32 v13, 7, v4
	v_lshrrev_b32_e32 v12, 2, v4
	v_cvt_f64_f32_e32 v[4:5], v5
	v_cmp_lt_i32_e32 vcc, 5, v13
	v_cmp_eq_u32_e64 s[0:1], 3, v13
	s_or_b64 vcc, s[0:1], vcc
	v_mul_f64 v[4:5], v[4:5], s[6:7]
	v_addc_co_u32_e32 v12, vcc, 0, v12, vcc
	v_cmp_gt_i32_e32 vcc, 31, v8
	v_cndmask_b32_e32 v12, v6, v12, vcc
	v_cmp_ne_u32_e32 vcc, 0, v0
	v_cndmask_b32_e64 v0, 0, 1, vcc
	v_lshl_or_b32 v0, v0, 9, v6
	v_cmp_eq_u32_e32 vcc, s16, v8
	v_cndmask_b32_e32 v0, v12, v0, vcc
	v_lshrrev_b32_e32 v1, 16, v1
	v_and_or_b32 v8, v1, s10, v0
	v_and_or_b32 v0, v5, s18, v4
	v_cmp_ne_u32_e32 vcc, 0, v0
	v_cndmask_b32_e64 v0, 0, 1, vcc
	v_lshrrev_b32_e32 v1, 8, v5
	v_and_or_b32 v4, v1, s17, v0
	v_bfe_u32 v1, v5, 20, 11
	v_sub_u32_e32 v12, 0x3f1, v1
	v_or_b32_e32 v0, 0x1000, v4
	v_med3_i32 v12, v12, 0, 13
	v_lshrrev_b32_e32 v13, v12, v0
	v_lshlrev_b32_e32 v12, v12, v13
	v_cmp_ne_u32_e32 vcc, v12, v0
	v_cndmask_b32_e64 v0, 0, 1, vcc
	v_add_u32_e32 v12, 0xfffffc10, v1
	v_or_b32_e32 v0, v13, v0
	v_lshl_or_b32 v1, v12, 12, v4
	v_cmp_gt_i32_e32 vcc, 1, v12
	v_cndmask_b32_e32 v0, v1, v0, vcc
	v_and_b32_e32 v1, 7, v0
	v_cmp_lt_i32_e32 vcc, 5, v1
	v_cmp_eq_u32_e64 s[0:1], 3, v1
	v_lshrrev_b32_e32 v0, 2, v0
	s_or_b64 vcc, s[0:1], vcc
	v_addc_co_u32_e32 v13, vcc, 0, v0, vcc
	v_add_u32_e32 v0, 0x800, v41
	ds_read2_b32 v[0:1], v0 offset0:118 offset1:244
	v_cmp_gt_i32_e32 vcc, 31, v12
	v_cndmask_b32_e32 v13, v6, v13, vcc
	v_cmp_ne_u32_e32 vcc, 0, v4
	v_cndmask_b32_e64 v4, 0, 1, vcc
	s_waitcnt lgkmcnt(0)
	v_lshrrev_b32_e32 v14, 16, v0
	s_waitcnt vmcnt(5)
	v_mul_f16_sdwa v15, v14, v17 dst_sel:DWORD dst_unused:UNUSED_PAD src0_sel:DWORD src1_sel:WORD_1
	v_fma_f16 v15, v0, v17, v15
	v_cvt_f32_f16_e32 v15, v15
	v_lshl_or_b32 v4, v4, 9, v6
	v_cmp_eq_u32_e32 vcc, s16, v12
	v_cndmask_b32_e32 v4, v13, v4, vcc
	v_cvt_f64_f32_e32 v[12:13], v15
	v_lshrrev_b32_e32 v5, 16, v5
	v_and_or_b32 v15, v5, s10, v4
	v_add_co_u32_e32 v2, vcc, s3, v2
	v_mul_f64 v[4:5], v[12:13], s[6:7]
	v_mov_b32_e32 v12, s2
	v_and_b32_e32 v8, 0xffff, v8
	v_addc_co_u32_e32 v3, vcc, v3, v12, vcc
	v_lshl_or_b32 v8, v15, 16, v8
	global_store_dword v[2:3], v8, off
	v_mul_f16_sdwa v0, v0, v17 dst_sel:DWORD dst_unused:UNUSED_PAD src0_sel:DWORD src1_sel:WORD_1
	v_and_or_b32 v4, v5, s18, v4
	v_cmp_ne_u32_e32 vcc, 0, v4
	v_cndmask_b32_e64 v4, 0, 1, vcc
	v_lshrrev_b32_e32 v8, 8, v5
	v_bfe_u32 v12, v5, 20, 11
	v_and_or_b32 v4, v8, s17, v4
	v_sub_u32_e32 v13, 0x3f1, v12
	v_or_b32_e32 v8, 0x1000, v4
	v_med3_i32 v13, v13, 0, 13
	v_lshrrev_b32_e32 v15, v13, v8
	v_lshlrev_b32_e32 v13, v13, v15
	v_cmp_ne_u32_e32 vcc, v13, v8
	v_cndmask_b32_e64 v8, 0, 1, vcc
	v_fma_f16 v0, v17, v14, -v0
	v_or_b32_e32 v8, v15, v8
	v_add_u32_e32 v15, 0xfffffc10, v12
	v_cvt_f32_f16_e32 v0, v0
	v_lshl_or_b32 v12, v15, 12, v4
	v_cmp_gt_i32_e32 vcc, 1, v15
	v_cndmask_b32_e32 v8, v12, v8, vcc
	v_and_b32_e32 v12, 7, v8
	v_cmp_lt_i32_e32 vcc, 5, v12
	v_cmp_eq_u32_e64 s[0:1], 3, v12
	v_cvt_f64_f32_e32 v[12:13], v0
	v_lshrrev_b32_e32 v8, 2, v8
	s_or_b64 vcc, s[0:1], vcc
	v_addc_co_u32_e32 v0, vcc, 0, v8, vcc
	v_mul_f64 v[12:13], v[12:13], s[6:7]
	v_cmp_gt_i32_e32 vcc, 31, v15
	v_cndmask_b32_e32 v0, v6, v0, vcc
	v_cmp_ne_u32_e32 vcc, 0, v4
	v_cndmask_b32_e64 v4, 0, 1, vcc
	v_lshl_or_b32 v4, v4, 9, v6
	v_cmp_eq_u32_e32 vcc, s16, v15
	v_cndmask_b32_e32 v0, v0, v4, vcc
	v_lshrrev_b32_e32 v4, 16, v5
	v_and_or_b32 v0, v4, s10, v0
	v_and_or_b32 v4, v13, s18, v12
	v_cmp_ne_u32_e32 vcc, 0, v4
	v_cndmask_b32_e64 v4, 0, 1, vcc
	v_lshrrev_b32_e32 v5, 8, v13
	v_bfe_u32 v8, v13, 20, 11
	v_and_or_b32 v4, v5, s17, v4
	v_sub_u32_e32 v12, 0x3f1, v8
	v_or_b32_e32 v5, 0x1000, v4
	v_med3_i32 v12, v12, 0, 13
	v_lshrrev_b32_e32 v14, v12, v5
	v_lshlrev_b32_e32 v12, v12, v14
	v_cmp_ne_u32_e32 vcc, v12, v5
	v_cndmask_b32_e64 v5, 0, 1, vcc
	v_add_u32_e32 v8, 0xfffffc10, v8
	v_or_b32_e32 v5, v14, v5
	v_lshl_or_b32 v12, v8, 12, v4
	v_cmp_gt_i32_e32 vcc, 1, v8
	v_cndmask_b32_e32 v5, v12, v5, vcc
	v_and_b32_e32 v12, 7, v5
	v_cmp_lt_i32_e32 vcc, 5, v12
	v_cmp_eq_u32_e64 s[0:1], 3, v12
	v_lshrrev_b32_e32 v5, 2, v5
	s_or_b64 vcc, s[0:1], vcc
	v_addc_co_u32_e32 v5, vcc, 0, v5, vcc
	v_cmp_gt_i32_e32 vcc, 31, v8
	v_cndmask_b32_e32 v5, v6, v5, vcc
	v_cmp_ne_u32_e32 vcc, 0, v4
	v_cndmask_b32_e64 v4, 0, 1, vcc
	v_lshl_or_b32 v4, v4, 9, v6
	v_cmp_eq_u32_e32 vcc, s16, v8
	v_cndmask_b32_e32 v8, v5, v4, vcc
	v_lshrrev_b32_e32 v13, 16, v13
	v_and_or_b32 v8, v13, s10, v8
	global_load_dword v13, v41, s[12:13] offset:3528
	v_lshrrev_b32_e32 v12, 16, v1
	s_waitcnt vmcnt(6)
	v_mul_f16_sdwa v14, v12, v11 dst_sel:DWORD dst_unused:UNUSED_PAD src0_sel:DWORD src1_sel:WORD_1
	v_fma_f16 v14, v1, v11, v14
	v_cvt_f32_f16_e32 v14, v14
	v_and_b32_e32 v0, 0xffff, v0
	v_lshl_or_b32 v0, v8, 16, v0
	v_mov_b32_e32 v8, s2
	v_cvt_f64_f32_e32 v[4:5], v14
	v_add_co_u32_e32 v2, vcc, s3, v2
	v_addc_co_u32_e32 v3, vcc, v3, v8, vcc
	v_mul_f64 v[4:5], v[4:5], s[6:7]
	global_store_dword v[2:3], v0, off
	v_mul_f16_sdwa v1, v1, v11 dst_sel:DWORD dst_unused:UNUSED_PAD src0_sel:DWORD src1_sel:WORD_1
	v_fma_f16 v1, v11, v12, -v1
	v_cvt_f32_f16_e32 v1, v1
	v_and_or_b32 v0, v5, s18, v4
	v_cmp_ne_u32_e32 vcc, 0, v0
	v_cndmask_b32_e64 v0, 0, 1, vcc
	v_lshrrev_b32_e32 v4, 8, v5
	v_bfe_u32 v8, v5, 20, 11
	v_and_or_b32 v4, v4, s17, v0
	v_sub_u32_e32 v14, 0x3f1, v8
	v_or_b32_e32 v0, 0x1000, v4
	v_med3_i32 v14, v14, 0, 13
	v_lshrrev_b32_e32 v15, v14, v0
	v_lshlrev_b32_e32 v14, v14, v15
	v_cmp_ne_u32_e32 vcc, v14, v0
	v_cndmask_b32_e64 v0, 0, 1, vcc
	v_add_u32_e32 v8, 0xfffffc10, v8
	v_or_b32_e32 v0, v15, v0
	global_load_dword v15, v41, s[12:13] offset:4032
	v_lshl_or_b32 v14, v8, 12, v4
	v_cmp_gt_i32_e32 vcc, 1, v8
	v_cndmask_b32_e32 v0, v14, v0, vcc
	v_and_b32_e32 v14, 7, v0
	v_lshrrev_b32_e32 v11, 2, v0
	v_cvt_f64_f32_e32 v[0:1], v1
	v_cmp_lt_i32_e32 vcc, 5, v14
	v_cmp_eq_u32_e64 s[0:1], 3, v14
	s_or_b64 vcc, s[0:1], vcc
	v_mul_f64 v[0:1], v[0:1], s[6:7]
	v_addc_co_u32_e32 v11, vcc, 0, v11, vcc
	v_cmp_gt_i32_e32 vcc, 31, v8
	v_cndmask_b32_e32 v11, v6, v11, vcc
	v_cmp_ne_u32_e32 vcc, 0, v4
	v_cndmask_b32_e64 v4, 0, 1, vcc
	v_lshl_or_b32 v4, v4, 9, v6
	v_cmp_eq_u32_e32 vcc, s16, v8
	v_and_or_b32 v0, v1, s18, v0
	v_cndmask_b32_e32 v4, v11, v4, vcc
	v_lshrrev_b32_e32 v5, 16, v5
	v_cmp_ne_u32_e32 vcc, 0, v0
	v_and_or_b32 v8, v5, s10, v4
	v_cndmask_b32_e64 v0, 0, 1, vcc
	v_lshrrev_b32_e32 v4, 8, v1
	v_bfe_u32 v5, v1, 20, 11
	v_and_or_b32 v0, v4, s17, v0
	v_sub_u32_e32 v11, 0x3f1, v5
	v_or_b32_e32 v4, 0x1000, v0
	v_med3_i32 v11, v11, 0, 13
	v_lshrrev_b32_e32 v12, v11, v4
	v_lshlrev_b32_e32 v11, v11, v12
	v_cmp_ne_u32_e32 vcc, v11, v4
	v_cndmask_b32_e64 v4, 0, 1, vcc
	v_add_u32_e32 v11, 0xfffffc10, v5
	v_or_b32_e32 v4, v12, v4
	v_lshl_or_b32 v5, v11, 12, v0
	v_cmp_gt_i32_e32 vcc, 1, v11
	v_cndmask_b32_e32 v4, v5, v4, vcc
	v_and_b32_e32 v5, 7, v4
	v_cmp_lt_i32_e32 vcc, 5, v5
	v_cmp_eq_u32_e64 s[0:1], 3, v5
	v_lshrrev_b32_e32 v4, 2, v4
	s_or_b64 vcc, s[0:1], vcc
	v_addc_co_u32_e32 v12, vcc, 0, v4, vcc
	v_add_u32_e32 v4, 0xc00, v41
	ds_read2_b32 v[4:5], v4 offset0:114 offset1:240
	v_cmp_gt_i32_e32 vcc, 31, v11
	v_cndmask_b32_e32 v12, v6, v12, vcc
	v_cmp_ne_u32_e32 vcc, 0, v0
	v_cndmask_b32_e64 v0, 0, 1, vcc
	s_waitcnt lgkmcnt(0)
	v_lshrrev_b32_e32 v14, 16, v4
	s_waitcnt vmcnt(2)
	v_mul_f16_sdwa v16, v14, v13 dst_sel:DWORD dst_unused:UNUSED_PAD src0_sel:DWORD src1_sel:WORD_1
	v_fma_f16 v16, v4, v13, v16
	v_cvt_f32_f16_e32 v16, v16
	v_lshl_or_b32 v0, v0, 9, v6
	v_cmp_eq_u32_e32 vcc, s16, v11
	v_cndmask_b32_e32 v0, v12, v0, vcc
	v_cvt_f64_f32_e32 v[11:12], v16
	v_lshrrev_b32_e32 v1, 16, v1
	v_and_or_b32 v16, v1, s10, v0
	v_add_co_u32_e32 v2, vcc, s3, v2
	v_mul_f64 v[0:1], v[11:12], s[6:7]
	v_mov_b32_e32 v11, s2
	v_and_b32_e32 v8, 0xffff, v8
	v_addc_co_u32_e32 v3, vcc, v3, v11, vcc
	v_lshl_or_b32 v8, v16, 16, v8
	global_store_dword v[2:3], v8, off
	v_mul_f16_sdwa v4, v4, v13 dst_sel:DWORD dst_unused:UNUSED_PAD src0_sel:DWORD src1_sel:WORD_1
	v_and_or_b32 v0, v1, s18, v0
	v_cmp_ne_u32_e32 vcc, 0, v0
	v_cndmask_b32_e64 v0, 0, 1, vcc
	v_lshrrev_b32_e32 v8, 8, v1
	v_bfe_u32 v11, v1, 20, 11
	v_and_or_b32 v0, v8, s17, v0
	v_sub_u32_e32 v12, 0x3f1, v11
	v_or_b32_e32 v8, 0x1000, v0
	v_med3_i32 v12, v12, 0, 13
	v_lshrrev_b32_e32 v16, v12, v8
	v_lshlrev_b32_e32 v12, v12, v16
	v_cmp_ne_u32_e32 vcc, v12, v8
	v_cndmask_b32_e64 v8, 0, 1, vcc
	v_fma_f16 v4, v13, v14, -v4
	v_or_b32_e32 v8, v16, v8
	v_add_u32_e32 v16, 0xfffffc10, v11
	v_cvt_f32_f16_e32 v4, v4
	v_lshl_or_b32 v11, v16, 12, v0
	v_cmp_gt_i32_e32 vcc, 1, v16
	v_cndmask_b32_e32 v8, v11, v8, vcc
	v_and_b32_e32 v11, 7, v8
	v_cmp_lt_i32_e32 vcc, 5, v11
	v_cmp_eq_u32_e64 s[0:1], 3, v11
	v_cvt_f64_f32_e32 v[11:12], v4
	v_lshrrev_b32_e32 v8, 2, v8
	s_or_b64 vcc, s[0:1], vcc
	v_addc_co_u32_e32 v4, vcc, 0, v8, vcc
	v_mul_f64 v[11:12], v[11:12], s[6:7]
	v_cmp_gt_i32_e32 vcc, 31, v16
	v_cndmask_b32_e32 v4, v6, v4, vcc
	v_cmp_ne_u32_e32 vcc, 0, v0
	v_cndmask_b32_e64 v0, 0, 1, vcc
	v_lshl_or_b32 v0, v0, 9, v6
	v_cmp_eq_u32_e32 vcc, s16, v16
	v_cndmask_b32_e32 v0, v4, v0, vcc
	v_lshrrev_b32_e32 v1, 16, v1
	v_and_or_b32 v4, v1, s10, v0
	v_and_or_b32 v0, v12, s18, v11
	v_cmp_ne_u32_e32 vcc, 0, v0
	v_cndmask_b32_e64 v0, 0, 1, vcc
	v_lshrrev_b32_e32 v1, 8, v12
	v_bfe_u32 v8, v12, 20, 11
	v_and_or_b32 v0, v1, s17, v0
	v_sub_u32_e32 v11, 0x3f1, v8
	v_or_b32_e32 v1, 0x1000, v0
	v_med3_i32 v11, v11, 0, 13
	v_lshrrev_b32_e32 v13, v11, v1
	v_lshlrev_b32_e32 v11, v11, v13
	v_cmp_ne_u32_e32 vcc, v11, v1
	v_cndmask_b32_e64 v1, 0, 1, vcc
	v_add_u32_e32 v8, 0xfffffc10, v8
	v_or_b32_e32 v1, v13, v1
	v_lshl_or_b32 v11, v8, 12, v0
	v_cmp_gt_i32_e32 vcc, 1, v8
	v_cndmask_b32_e32 v1, v11, v1, vcc
	v_and_b32_e32 v11, 7, v1
	v_cmp_lt_i32_e32 vcc, 5, v11
	v_cmp_eq_u32_e64 s[0:1], 3, v11
	v_lshrrev_b32_e32 v13, 16, v5
	v_lshrrev_b32_e32 v1, 2, v1
	s_or_b64 vcc, s[0:1], vcc
	s_waitcnt vmcnt(1)
	v_mul_f16_sdwa v11, v13, v15 dst_sel:DWORD dst_unused:UNUSED_PAD src0_sel:DWORD src1_sel:WORD_1
	v_addc_co_u32_e32 v1, vcc, 0, v1, vcc
	v_fma_f16 v11, v5, v15, v11
	v_cmp_gt_i32_e32 vcc, 31, v8
	v_cvt_f32_f16_e32 v11, v11
	v_cndmask_b32_e32 v1, v6, v1, vcc
	v_cmp_ne_u32_e32 vcc, 0, v0
	v_cndmask_b32_e64 v0, 0, 1, vcc
	v_lshl_or_b32 v0, v0, 9, v6
	v_cmp_eq_u32_e32 vcc, s16, v8
	v_cndmask_b32_e32 v8, v1, v0, vcc
	v_cvt_f64_f32_e32 v[0:1], v11
	v_lshrrev_b32_e32 v11, 16, v12
	v_and_or_b32 v8, v11, s10, v8
	v_and_b32_e32 v4, 0xffff, v4
	v_mul_f64 v[11:12], v[0:1], s[6:7]
	v_add_co_u32_e32 v0, vcc, s19, v9
	v_addc_co_u32_e32 v1, vcc, 0, v10, vcc
	global_load_dword v14, v[0:1], off offset:440
	v_lshl_or_b32 v4, v8, 16, v4
	v_mov_b32_e32 v8, s2
	v_add_co_u32_e32 v2, vcc, s3, v2
	v_addc_co_u32_e32 v3, vcc, v3, v8, vcc
	global_store_dword v[2:3], v4, off
	v_and_or_b32 v4, v12, s18, v11
	v_cmp_ne_u32_e32 vcc, 0, v4
	v_cndmask_b32_e64 v4, 0, 1, vcc
	v_lshrrev_b32_e32 v8, 8, v12
	v_bfe_u32 v9, v12, 20, 11
	v_and_or_b32 v8, v8, s17, v4
	v_sub_u32_e32 v10, 0x3f1, v9
	v_or_b32_e32 v4, 0x1000, v8
	v_med3_i32 v10, v10, 0, 13
	v_lshrrev_b32_e32 v11, v10, v4
	v_lshlrev_b32_e32 v10, v10, v11
	v_mul_f16_sdwa v5, v5, v15 dst_sel:DWORD dst_unused:UNUSED_PAD src0_sel:DWORD src1_sel:WORD_1
	v_cmp_ne_u32_e32 vcc, v10, v4
	v_fma_f16 v5, v15, v13, -v5
	v_cndmask_b32_e64 v4, 0, 1, vcc
	v_add_u32_e32 v9, 0xfffffc10, v9
	v_cvt_f32_f16_e32 v5, v5
	v_or_b32_e32 v4, v11, v4
	v_lshl_or_b32 v10, v9, 12, v8
	v_cmp_gt_i32_e32 vcc, 1, v9
	v_cndmask_b32_e32 v4, v10, v4, vcc
	v_and_b32_e32 v10, 7, v4
	v_cmp_lt_i32_e32 vcc, 5, v10
	v_cmp_eq_u32_e64 s[0:1], 3, v10
	v_lshrrev_b32_e32 v10, 2, v4
	v_cvt_f64_f32_e32 v[4:5], v5
	s_or_b64 vcc, s[0:1], vcc
	v_addc_co_u32_e32 v10, vcc, 0, v10, vcc
	v_mul_f64 v[4:5], v[4:5], s[6:7]
	v_cmp_gt_i32_e32 vcc, 31, v9
	v_cndmask_b32_e32 v10, v6, v10, vcc
	v_cmp_ne_u32_e32 vcc, 0, v8
	v_cndmask_b32_e64 v8, 0, 1, vcc
	v_lshl_or_b32 v8, v8, 9, v6
	v_cmp_eq_u32_e32 vcc, s16, v9
	v_cndmask_b32_e32 v8, v10, v8, vcc
	v_and_or_b32 v4, v5, s18, v4
	v_lshrrev_b32_e32 v9, 16, v12
	v_cmp_ne_u32_e32 vcc, 0, v4
	v_and_or_b32 v11, v9, s10, v8
	v_cndmask_b32_e64 v4, 0, 1, vcc
	v_lshrrev_b32_e32 v8, 8, v5
	v_bfe_u32 v9, v5, 20, 11
	v_and_or_b32 v4, v8, s17, v4
	v_sub_u32_e32 v10, 0x3f1, v9
	v_or_b32_e32 v8, 0x1000, v4
	v_med3_i32 v10, v10, 0, 13
	v_lshrrev_b32_e32 v12, v10, v8
	v_lshlrev_b32_e32 v10, v10, v12
	v_cmp_ne_u32_e32 vcc, v10, v8
	v_cndmask_b32_e64 v8, 0, 1, vcc
	v_add_u32_e32 v9, 0xfffffc10, v9
	v_or_b32_e32 v8, v12, v8
	v_lshl_or_b32 v10, v9, 12, v4
	v_cmp_gt_i32_e32 vcc, 1, v9
	v_cndmask_b32_e32 v8, v10, v8, vcc
	v_and_b32_e32 v10, 7, v8
	v_cmp_lt_i32_e32 vcc, 5, v10
	v_cmp_eq_u32_e64 s[0:1], 3, v10
	v_lshrrev_b32_e32 v8, 2, v8
	s_or_b64 vcc, s[0:1], vcc
	v_addc_co_u32_e32 v10, vcc, 0, v8, vcc
	ds_read2_b32 v[7:8], v7 offset0:110 offset1:236
	global_load_dword v13, v[0:1], off offset:944
	global_load_dword v15, v[0:1], off offset:1448
	v_cmp_gt_i32_e32 vcc, 31, v9
	v_cndmask_b32_e32 v10, v6, v10, vcc
	v_cmp_ne_u32_e32 vcc, 0, v4
	s_waitcnt lgkmcnt(0)
	v_lshrrev_b32_e32 v12, 16, v7
	v_cndmask_b32_e64 v4, 0, 1, vcc
	v_lshl_or_b32 v4, v4, 9, v6
	s_waitcnt vmcnt(3)
	v_mul_f16_sdwa v16, v12, v14 dst_sel:DWORD dst_unused:UNUSED_PAD src0_sel:DWORD src1_sel:WORD_1
	v_fma_f16 v16, v7, v14, v16
	v_cvt_f32_f16_e32 v16, v16
	v_cmp_eq_u32_e32 vcc, s16, v9
	v_cndmask_b32_e32 v4, v10, v4, vcc
	v_lshrrev_b32_e32 v5, 16, v5
	v_cvt_f64_f32_e32 v[9:10], v16
	v_and_or_b32 v16, v5, s10, v4
	v_add_co_u32_e32 v2, vcc, s3, v2
	v_mul_f64 v[4:5], v[9:10], s[6:7]
	v_mov_b32_e32 v10, s2
	v_and_b32_e32 v11, 0xffff, v11
	v_addc_co_u32_e32 v3, vcc, v3, v10, vcc
	v_lshl_or_b32 v9, v16, 16, v11
	global_store_dword v[2:3], v9, off
	v_mul_f16_sdwa v7, v7, v14 dst_sel:DWORD dst_unused:UNUSED_PAD src0_sel:DWORD src1_sel:WORD_1
	v_and_or_b32 v4, v5, s18, v4
	v_cmp_ne_u32_e32 vcc, 0, v4
	v_cndmask_b32_e64 v4, 0, 1, vcc
	v_lshrrev_b32_e32 v9, 8, v5
	v_bfe_u32 v10, v5, 20, 11
	v_and_or_b32 v4, v9, s17, v4
	v_sub_u32_e32 v11, 0x3f1, v10
	v_or_b32_e32 v9, 0x1000, v4
	v_med3_i32 v11, v11, 0, 13
	v_lshrrev_b32_e32 v16, v11, v9
	v_lshlrev_b32_e32 v11, v11, v16
	v_cmp_ne_u32_e32 vcc, v11, v9
	v_fma_f16 v7, v14, v12, -v7
	v_cndmask_b32_e64 v9, 0, 1, vcc
	v_add_u32_e32 v11, 0xfffffc10, v10
	v_cvt_f32_f16_e32 v7, v7
	v_or_b32_e32 v9, v16, v9
	v_lshl_or_b32 v10, v11, 12, v4
	v_cmp_gt_i32_e32 vcc, 1, v11
	v_cndmask_b32_e32 v9, v10, v9, vcc
	v_and_b32_e32 v10, 7, v9
	v_cmp_lt_i32_e32 vcc, 5, v10
	v_cmp_eq_u32_e64 s[0:1], 3, v10
	v_lshrrev_b32_e32 v12, 2, v9
	v_cvt_f64_f32_e32 v[9:10], v7
	s_or_b64 vcc, s[0:1], vcc
	v_addc_co_u32_e32 v7, vcc, 0, v12, vcc
	v_mul_f64 v[9:10], v[9:10], s[6:7]
	v_cmp_gt_i32_e32 vcc, 31, v11
	v_cndmask_b32_e32 v7, v6, v7, vcc
	v_cmp_ne_u32_e32 vcc, 0, v4
	v_cndmask_b32_e64 v4, 0, 1, vcc
	v_lshl_or_b32 v4, v4, 9, v6
	v_cmp_eq_u32_e32 vcc, s16, v11
	v_cndmask_b32_e32 v4, v7, v4, vcc
	v_lshrrev_b32_e32 v5, 16, v5
	v_and_or_b32 v7, v5, s10, v4
	v_and_or_b32 v4, v10, s18, v9
	v_cmp_ne_u32_e32 vcc, 0, v4
	v_cndmask_b32_e64 v4, 0, 1, vcc
	v_lshrrev_b32_e32 v5, 8, v10
	v_bfe_u32 v9, v10, 20, 11
	v_and_or_b32 v4, v5, s17, v4
	v_sub_u32_e32 v11, 0x3f1, v9
	v_or_b32_e32 v5, 0x1000, v4
	v_med3_i32 v11, v11, 0, 13
	v_lshrrev_b32_e32 v12, v11, v5
	v_lshlrev_b32_e32 v11, v11, v12
	v_cmp_ne_u32_e32 vcc, v11, v5
	v_cndmask_b32_e64 v5, 0, 1, vcc
	v_add_u32_e32 v9, 0xfffffc10, v9
	v_or_b32_e32 v5, v12, v5
	v_lshl_or_b32 v11, v9, 12, v4
	v_cmp_gt_i32_e32 vcc, 1, v9
	v_cndmask_b32_e32 v5, v11, v5, vcc
	v_and_b32_e32 v11, 7, v5
	v_cmp_lt_i32_e32 vcc, 5, v11
	v_cmp_eq_u32_e64 s[0:1], 3, v11
	v_lshrrev_b32_e32 v11, 16, v8
	v_lshrrev_b32_e32 v5, 2, v5
	s_or_b64 vcc, s[0:1], vcc
	s_waitcnt vmcnt(2)
	v_mul_f16_sdwa v12, v11, v13 dst_sel:DWORD dst_unused:UNUSED_PAD src0_sel:DWORD src1_sel:WORD_1
	v_addc_co_u32_e32 v5, vcc, 0, v5, vcc
	v_fma_f16 v12, v8, v13, v12
	v_cmp_gt_i32_e32 vcc, 31, v9
	v_cvt_f32_f16_e32 v12, v12
	v_cndmask_b32_e32 v5, v6, v5, vcc
	v_cmp_ne_u32_e32 vcc, 0, v4
	v_cndmask_b32_e64 v4, 0, 1, vcc
	v_lshl_or_b32 v4, v4, 9, v6
	v_cmp_eq_u32_e32 vcc, s16, v9
	v_cndmask_b32_e32 v9, v5, v4, vcc
	v_cvt_f64_f32_e32 v[4:5], v12
	v_lshrrev_b32_e32 v10, 16, v10
	v_and_or_b32 v9, v10, s10, v9
	v_and_b32_e32 v7, 0xffff, v7
	v_mul_f64 v[4:5], v[4:5], s[6:7]
	v_lshl_or_b32 v7, v9, 16, v7
	v_mov_b32_e32 v9, s2
	v_add_co_u32_e32 v2, vcc, s3, v2
	v_addc_co_u32_e32 v3, vcc, v3, v9, vcc
	global_store_dword v[2:3], v7, off
	v_and_or_b32 v4, v5, s18, v4
	v_cmp_ne_u32_e32 vcc, 0, v4
	v_cndmask_b32_e64 v4, 0, 1, vcc
	v_lshrrev_b32_e32 v7, 8, v5
	v_bfe_u32 v9, v5, 20, 11
	v_and_or_b32 v4, v7, s17, v4
	v_sub_u32_e32 v10, 0x3f1, v9
	v_or_b32_e32 v7, 0x1000, v4
	v_med3_i32 v10, v10, 0, 13
	v_lshrrev_b32_e32 v12, v10, v7
	v_lshlrev_b32_e32 v10, v10, v12
	v_mul_f16_sdwa v8, v8, v13 dst_sel:DWORD dst_unused:UNUSED_PAD src0_sel:DWORD src1_sel:WORD_1
	v_cmp_ne_u32_e32 vcc, v10, v7
	v_fma_f16 v8, v13, v11, -v8
	v_cndmask_b32_e64 v7, 0, 1, vcc
	v_add_u32_e32 v9, 0xfffffc10, v9
	v_cvt_f32_f16_e32 v8, v8
	v_or_b32_e32 v7, v12, v7
	v_lshl_or_b32 v10, v9, 12, v4
	v_cmp_gt_i32_e32 vcc, 1, v9
	v_cndmask_b32_e32 v7, v10, v7, vcc
	v_and_b32_e32 v10, 7, v7
	v_cmp_lt_i32_e32 vcc, 5, v10
	v_cmp_eq_u32_e64 s[0:1], 3, v10
	v_lshrrev_b32_e32 v10, 2, v7
	v_cvt_f64_f32_e32 v[7:8], v8
	s_or_b64 vcc, s[0:1], vcc
	v_addc_co_u32_e32 v10, vcc, 0, v10, vcc
	v_mul_f64 v[7:8], v[7:8], s[6:7]
	v_cmp_gt_i32_e32 vcc, 31, v9
	v_cndmask_b32_e32 v10, v6, v10, vcc
	v_cmp_ne_u32_e32 vcc, 0, v4
	v_cndmask_b32_e64 v4, 0, 1, vcc
	v_lshl_or_b32 v4, v4, 9, v6
	v_cmp_eq_u32_e32 vcc, s16, v9
	v_cndmask_b32_e32 v4, v10, v4, vcc
	v_lshrrev_b32_e32 v5, 16, v5
	v_and_or_b32 v11, v5, s10, v4
	v_and_or_b32 v4, v8, s18, v7
	v_cmp_ne_u32_e32 vcc, 0, v4
	v_cndmask_b32_e64 v4, 0, 1, vcc
	v_lshrrev_b32_e32 v5, 8, v8
	v_and_or_b32 v7, v5, s17, v4
	v_bfe_u32 v5, v8, 20, 11
	v_sub_u32_e32 v9, 0x3f1, v5
	v_or_b32_e32 v4, 0x1000, v7
	v_med3_i32 v9, v9, 0, 13
	v_lshrrev_b32_e32 v10, v9, v4
	v_lshlrev_b32_e32 v9, v9, v10
	v_cmp_ne_u32_e32 vcc, v9, v4
	v_cndmask_b32_e64 v4, 0, 1, vcc
	v_add_u32_e32 v9, 0xfffffc10, v5
	v_or_b32_e32 v4, v10, v4
	v_lshl_or_b32 v5, v9, 12, v7
	v_cmp_gt_i32_e32 vcc, 1, v9
	v_cndmask_b32_e32 v4, v5, v4, vcc
	v_and_b32_e32 v5, 7, v4
	v_cmp_lt_i32_e32 vcc, 5, v5
	v_cmp_eq_u32_e64 s[0:1], 3, v5
	v_lshrrev_b32_e32 v4, 2, v4
	s_or_b64 vcc, s[0:1], vcc
	v_addc_co_u32_e32 v10, vcc, 0, v4, vcc
	v_add_u32_e32 v4, 0x1400, v41
	ds_read2_b32 v[4:5], v4 offset0:106 offset1:232
	v_cmp_gt_i32_e32 vcc, 31, v9
	v_cndmask_b32_e32 v10, v6, v10, vcc
	v_cmp_ne_u32_e32 vcc, 0, v7
	v_cndmask_b32_e64 v7, 0, 1, vcc
	s_waitcnt lgkmcnt(0)
	v_lshrrev_b32_e32 v12, 16, v4
	s_waitcnt vmcnt(2)
	v_mul_f16_sdwa v13, v12, v15 dst_sel:DWORD dst_unused:UNUSED_PAD src0_sel:DWORD src1_sel:WORD_1
	v_fma_f16 v13, v4, v15, v13
	v_cvt_f32_f16_e32 v13, v13
	v_lshl_or_b32 v7, v7, 9, v6
	v_cmp_eq_u32_e32 vcc, s16, v9
	v_cndmask_b32_e32 v7, v10, v7, vcc
	v_cvt_f64_f32_e32 v[9:10], v13
	v_lshrrev_b32_e32 v8, 16, v8
	v_and_or_b32 v13, v8, s10, v7
	v_add_co_u32_e32 v2, vcc, s3, v2
	v_mul_f64 v[7:8], v[9:10], s[6:7]
	v_mov_b32_e32 v10, s2
	v_and_b32_e32 v11, 0xffff, v11
	v_addc_co_u32_e32 v3, vcc, v3, v10, vcc
	v_lshl_or_b32 v9, v13, 16, v11
	global_store_dword v[2:3], v9, off
	v_mul_f16_sdwa v4, v4, v15 dst_sel:DWORD dst_unused:UNUSED_PAD src0_sel:DWORD src1_sel:WORD_1
	v_and_or_b32 v7, v8, s18, v7
	v_cmp_ne_u32_e32 vcc, 0, v7
	v_cndmask_b32_e64 v7, 0, 1, vcc
	v_lshrrev_b32_e32 v9, 8, v8
	v_bfe_u32 v10, v8, 20, 11
	v_and_or_b32 v7, v9, s17, v7
	v_sub_u32_e32 v11, 0x3f1, v10
	v_or_b32_e32 v9, 0x1000, v7
	v_med3_i32 v11, v11, 0, 13
	v_lshrrev_b32_e32 v13, v11, v9
	v_lshlrev_b32_e32 v11, v11, v13
	v_cmp_ne_u32_e32 vcc, v11, v9
	v_fma_f16 v4, v15, v12, -v4
	v_cndmask_b32_e64 v9, 0, 1, vcc
	v_add_u32_e32 v11, 0xfffffc10, v10
	v_cvt_f32_f16_e32 v4, v4
	v_or_b32_e32 v9, v13, v9
	v_lshl_or_b32 v10, v11, 12, v7
	v_cmp_gt_i32_e32 vcc, 1, v11
	v_cndmask_b32_e32 v9, v10, v9, vcc
	v_and_b32_e32 v10, 7, v9
	v_cmp_lt_i32_e32 vcc, 5, v10
	v_cmp_eq_u32_e64 s[0:1], 3, v10
	v_lshrrev_b32_e32 v12, 2, v9
	v_cvt_f64_f32_e32 v[9:10], v4
	s_or_b64 vcc, s[0:1], vcc
	v_addc_co_u32_e32 v4, vcc, 0, v12, vcc
	v_mul_f64 v[9:10], v[9:10], s[6:7]
	v_cmp_gt_i32_e32 vcc, 31, v11
	v_cndmask_b32_e32 v4, v6, v4, vcc
	v_cmp_ne_u32_e32 vcc, 0, v7
	v_cndmask_b32_e64 v7, 0, 1, vcc
	v_lshl_or_b32 v7, v7, 9, v6
	v_cmp_eq_u32_e32 vcc, s16, v11
	v_cndmask_b32_e32 v4, v4, v7, vcc
	v_lshrrev_b32_e32 v7, 16, v8
	v_and_or_b32 v4, v7, s10, v4
	v_and_or_b32 v7, v10, s18, v9
	v_cmp_ne_u32_e32 vcc, 0, v7
	v_cndmask_b32_e64 v7, 0, 1, vcc
	v_lshrrev_b32_e32 v8, 8, v10
	v_bfe_u32 v9, v10, 20, 11
	v_and_or_b32 v7, v8, s17, v7
	v_sub_u32_e32 v11, 0x3f1, v9
	v_or_b32_e32 v8, 0x1000, v7
	v_med3_i32 v11, v11, 0, 13
	v_lshrrev_b32_e32 v12, v11, v8
	v_lshlrev_b32_e32 v11, v11, v12
	v_cmp_ne_u32_e32 vcc, v11, v8
	v_cndmask_b32_e64 v8, 0, 1, vcc
	v_add_u32_e32 v9, 0xfffffc10, v9
	v_or_b32_e32 v8, v12, v8
	v_lshl_or_b32 v11, v9, 12, v7
	v_cmp_gt_i32_e32 vcc, 1, v9
	v_cndmask_b32_e32 v8, v11, v8, vcc
	v_and_b32_e32 v11, 7, v8
	v_cmp_lt_i32_e32 vcc, 5, v11
	v_cmp_eq_u32_e64 s[0:1], 3, v11
	v_lshrrev_b32_e32 v8, 2, v8
	s_or_b64 vcc, s[0:1], vcc
	v_addc_co_u32_e32 v8, vcc, 0, v8, vcc
	v_cmp_gt_i32_e32 vcc, 31, v9
	v_cndmask_b32_e32 v8, v6, v8, vcc
	v_cmp_ne_u32_e32 vcc, 0, v7
	v_cndmask_b32_e64 v7, 0, 1, vcc
	v_lshl_or_b32 v7, v7, 9, v6
	v_cmp_eq_u32_e32 vcc, s16, v9
	v_cndmask_b32_e32 v7, v8, v7, vcc
	v_lshrrev_b32_e32 v8, 16, v10
	v_and_or_b32 v7, v8, s10, v7
	v_and_b32_e32 v4, 0xffff, v4
	v_lshl_or_b32 v4, v7, 16, v4
	v_mov_b32_e32 v7, s2
	v_add_co_u32_e32 v2, vcc, s3, v2
	v_addc_co_u32_e32 v3, vcc, v3, v7, vcc
	global_store_dword v[2:3], v4, off
	global_load_dword v4, v[0:1], off offset:1952
	v_lshrrev_b32_e32 v7, 16, v5
	s_waitcnt vmcnt(0)
	v_mul_f16_sdwa v0, v7, v4 dst_sel:DWORD dst_unused:UNUSED_PAD src0_sel:DWORD src1_sel:WORD_1
	v_fma_f16 v0, v5, v4, v0
	v_cvt_f32_f16_e32 v0, v0
	v_mul_f16_sdwa v5, v5, v4 dst_sel:DWORD dst_unused:UNUSED_PAD src0_sel:DWORD src1_sel:WORD_1
	v_fma_f16 v4, v4, v7, -v5
	v_cvt_f32_f16_e32 v4, v4
	v_cvt_f64_f32_e32 v[0:1], v0
	v_cvt_f64_f32_e32 v[4:5], v4
	v_mul_f64 v[0:1], v[0:1], s[6:7]
	v_mul_f64 v[4:5], v[4:5], s[6:7]
	v_and_or_b32 v0, v1, s18, v0
	v_cmp_ne_u32_e32 vcc, 0, v0
	v_cndmask_b32_e64 v0, 0, 1, vcc
	v_lshrrev_b32_e32 v8, 8, v1
	v_bfe_u32 v9, v1, 20, 11
	v_and_or_b32 v0, v8, s17, v0
	v_sub_u32_e32 v10, 0x3f1, v9
	v_or_b32_e32 v8, 0x1000, v0
	v_med3_i32 v10, v10, 0, 13
	v_lshrrev_b32_e32 v11, v10, v8
	v_lshlrev_b32_e32 v10, v10, v11
	v_cmp_ne_u32_e32 vcc, v10, v8
	v_cndmask_b32_e64 v8, 0, 1, vcc
	v_add_u32_e32 v9, 0xfffffc10, v9
	v_or_b32_e32 v8, v11, v8
	v_lshl_or_b32 v10, v9, 12, v0
	v_cmp_gt_i32_e32 vcc, 1, v9
	v_cndmask_b32_e32 v8, v10, v8, vcc
	v_and_b32_e32 v10, 7, v8
	v_cmp_lt_i32_e32 vcc, 5, v10
	v_cmp_eq_u32_e64 s[0:1], 3, v10
	v_lshrrev_b32_e32 v7, 2, v8
	s_or_b64 vcc, s[0:1], vcc
	v_addc_co_u32_e32 v7, vcc, 0, v7, vcc
	v_cmp_gt_i32_e32 vcc, 31, v9
	v_cndmask_b32_e32 v7, v6, v7, vcc
	v_cmp_ne_u32_e32 vcc, 0, v0
	v_cndmask_b32_e64 v0, 0, 1, vcc
	v_lshl_or_b32 v0, v0, 9, v6
	v_cmp_eq_u32_e32 vcc, s16, v9
	v_cndmask_b32_e32 v0, v7, v0, vcc
	v_lshrrev_b32_e32 v1, 16, v1
	v_and_or_b32 v0, v1, s10, v0
	v_and_or_b32 v1, v5, s18, v4
	v_cmp_ne_u32_e32 vcc, 0, v1
	v_cndmask_b32_e64 v1, 0, 1, vcc
	v_lshrrev_b32_e32 v4, 8, v5
	v_bfe_u32 v7, v5, 20, 11
	v_and_or_b32 v1, v4, s17, v1
	v_sub_u32_e32 v8, 0x3f1, v7
	v_or_b32_e32 v4, 0x1000, v1
	v_med3_i32 v8, v8, 0, 13
	v_lshrrev_b32_e32 v9, v8, v4
	v_lshlrev_b32_e32 v8, v8, v9
	v_cmp_ne_u32_e32 vcc, v8, v4
	v_cndmask_b32_e64 v4, 0, 1, vcc
	v_add_u32_e32 v7, 0xfffffc10, v7
	v_or_b32_e32 v4, v9, v4
	v_lshl_or_b32 v8, v7, 12, v1
	v_cmp_gt_i32_e32 vcc, 1, v7
	v_cndmask_b32_e32 v4, v8, v4, vcc
	v_and_b32_e32 v8, 7, v4
	v_cmp_lt_i32_e32 vcc, 5, v8
	v_cmp_eq_u32_e64 s[0:1], 3, v8
	v_lshrrev_b32_e32 v4, 2, v4
	s_or_b64 vcc, s[0:1], vcc
	v_addc_co_u32_e32 v4, vcc, 0, v4, vcc
	v_cmp_gt_i32_e32 vcc, 31, v7
	v_cndmask_b32_e32 v4, v6, v4, vcc
	v_cmp_ne_u32_e32 vcc, 0, v1
	v_cndmask_b32_e64 v1, 0, 1, vcc
	v_lshl_or_b32 v1, v1, 9, v6
	v_cmp_eq_u32_e32 vcc, s16, v7
	v_cndmask_b32_e32 v1, v4, v1, vcc
	v_lshrrev_b32_e32 v4, 16, v5
	v_and_or_b32 v1, v4, s10, v1
	v_and_b32_e32 v0, 0xffff, v0
	v_lshl_or_b32 v4, v1, 16, v0
	v_mov_b32_e32 v1, s2
	v_add_co_u32_e32 v0, vcc, s3, v2
	v_addc_co_u32_e32 v1, vcc, v3, v1, vcc
	global_store_dword v[0:1], v4, off
.LBB0_31:
	s_endpgm
	.section	.rodata,"a",@progbits
	.p2align	6, 0x0
	.amdhsa_kernel bluestein_single_fwd_len1638_dim1_half_op_CI_CI
		.amdhsa_group_segment_fixed_size 6552
		.amdhsa_private_segment_fixed_size 0
		.amdhsa_kernarg_size 104
		.amdhsa_user_sgpr_count 6
		.amdhsa_user_sgpr_private_segment_buffer 1
		.amdhsa_user_sgpr_dispatch_ptr 0
		.amdhsa_user_sgpr_queue_ptr 0
		.amdhsa_user_sgpr_kernarg_segment_ptr 1
		.amdhsa_user_sgpr_dispatch_id 0
		.amdhsa_user_sgpr_flat_scratch_init 0
		.amdhsa_user_sgpr_private_segment_size 0
		.amdhsa_uses_dynamic_stack 0
		.amdhsa_system_sgpr_private_segment_wavefront_offset 0
		.amdhsa_system_sgpr_workgroup_id_x 1
		.amdhsa_system_sgpr_workgroup_id_y 0
		.amdhsa_system_sgpr_workgroup_id_z 0
		.amdhsa_system_sgpr_workgroup_info 0
		.amdhsa_system_vgpr_workitem_id 0
		.amdhsa_next_free_vgpr 229
		.amdhsa_next_free_sgpr 31
		.amdhsa_reserve_vcc 1
		.amdhsa_reserve_flat_scratch 0
		.amdhsa_float_round_mode_32 0
		.amdhsa_float_round_mode_16_64 0
		.amdhsa_float_denorm_mode_32 3
		.amdhsa_float_denorm_mode_16_64 3
		.amdhsa_dx10_clamp 1
		.amdhsa_ieee_mode 1
		.amdhsa_fp16_overflow 0
		.amdhsa_exception_fp_ieee_invalid_op 0
		.amdhsa_exception_fp_denorm_src 0
		.amdhsa_exception_fp_ieee_div_zero 0
		.amdhsa_exception_fp_ieee_overflow 0
		.amdhsa_exception_fp_ieee_underflow 0
		.amdhsa_exception_fp_ieee_inexact 0
		.amdhsa_exception_int_div_zero 0
	.end_amdhsa_kernel
	.text
.Lfunc_end0:
	.size	bluestein_single_fwd_len1638_dim1_half_op_CI_CI, .Lfunc_end0-bluestein_single_fwd_len1638_dim1_half_op_CI_CI
                                        ; -- End function
	.section	.AMDGPU.csdata,"",@progbits
; Kernel info:
; codeLenInByte = 23472
; NumSgprs: 35
; NumVgprs: 229
; ScratchSize: 0
; MemoryBound: 0
; FloatMode: 240
; IeeeMode: 1
; LDSByteSize: 6552 bytes/workgroup (compile time only)
; SGPRBlocks: 4
; VGPRBlocks: 57
; NumSGPRsForWavesPerEU: 35
; NumVGPRsForWavesPerEU: 229
; Occupancy: 1
; WaveLimiterHint : 1
; COMPUTE_PGM_RSRC2:SCRATCH_EN: 0
; COMPUTE_PGM_RSRC2:USER_SGPR: 6
; COMPUTE_PGM_RSRC2:TRAP_HANDLER: 0
; COMPUTE_PGM_RSRC2:TGID_X_EN: 1
; COMPUTE_PGM_RSRC2:TGID_Y_EN: 0
; COMPUTE_PGM_RSRC2:TGID_Z_EN: 0
; COMPUTE_PGM_RSRC2:TIDIG_COMP_CNT: 0
	.type	__hip_cuid_25e8c0fd5bf6271d,@object ; @__hip_cuid_25e8c0fd5bf6271d
	.section	.bss,"aw",@nobits
	.globl	__hip_cuid_25e8c0fd5bf6271d
__hip_cuid_25e8c0fd5bf6271d:
	.byte	0                               ; 0x0
	.size	__hip_cuid_25e8c0fd5bf6271d, 1

	.ident	"AMD clang version 19.0.0git (https://github.com/RadeonOpenCompute/llvm-project roc-6.4.0 25133 c7fe45cf4b819c5991fe208aaa96edf142730f1d)"
	.section	".note.GNU-stack","",@progbits
	.addrsig
	.addrsig_sym __hip_cuid_25e8c0fd5bf6271d
	.amdgpu_metadata
---
amdhsa.kernels:
  - .args:
      - .actual_access:  read_only
        .address_space:  global
        .offset:         0
        .size:           8
        .value_kind:     global_buffer
      - .actual_access:  read_only
        .address_space:  global
        .offset:         8
        .size:           8
        .value_kind:     global_buffer
      - .actual_access:  read_only
        .address_space:  global
        .offset:         16
        .size:           8
        .value_kind:     global_buffer
      - .actual_access:  read_only
        .address_space:  global
        .offset:         24
        .size:           8
        .value_kind:     global_buffer
      - .actual_access:  read_only
        .address_space:  global
        .offset:         32
        .size:           8
        .value_kind:     global_buffer
      - .offset:         40
        .size:           8
        .value_kind:     by_value
      - .address_space:  global
        .offset:         48
        .size:           8
        .value_kind:     global_buffer
      - .address_space:  global
        .offset:         56
        .size:           8
        .value_kind:     global_buffer
      - .address_space:  global
        .offset:         64
        .size:           8
        .value_kind:     global_buffer
      - .address_space:  global
        .offset:         72
        .size:           8
        .value_kind:     global_buffer
      - .offset:         80
        .size:           4
        .value_kind:     by_value
      - .address_space:  global
        .offset:         88
        .size:           8
        .value_kind:     global_buffer
      - .address_space:  global
        .offset:         96
        .size:           8
        .value_kind:     global_buffer
    .group_segment_fixed_size: 6552
    .kernarg_segment_align: 8
    .kernarg_segment_size: 104
    .language:       OpenCL C
    .language_version:
      - 2
      - 0
    .max_flat_workgroup_size: 182
    .name:           bluestein_single_fwd_len1638_dim1_half_op_CI_CI
    .private_segment_fixed_size: 0
    .sgpr_count:     35
    .sgpr_spill_count: 0
    .symbol:         bluestein_single_fwd_len1638_dim1_half_op_CI_CI.kd
    .uniform_work_group_size: 1
    .uses_dynamic_stack: false
    .vgpr_count:     229
    .vgpr_spill_count: 0
    .wavefront_size: 64
amdhsa.target:   amdgcn-amd-amdhsa--gfx906
amdhsa.version:
  - 1
  - 2
...

	.end_amdgpu_metadata
